;; amdgpu-corpus repo=ROCm/rocFFT kind=compiled arch=gfx950 opt=O3
	.text
	.amdgcn_target "amdgcn-amd-amdhsa--gfx950"
	.amdhsa_code_object_version 6
	.protected	fft_rtc_fwd_len480_factors_10_8_6_wgs_64_tpt_16_halfLds_half_ip_CI_sbrr_dirReg ; -- Begin function fft_rtc_fwd_len480_factors_10_8_6_wgs_64_tpt_16_halfLds_half_ip_CI_sbrr_dirReg
	.globl	fft_rtc_fwd_len480_factors_10_8_6_wgs_64_tpt_16_halfLds_half_ip_CI_sbrr_dirReg
	.p2align	8
	.type	fft_rtc_fwd_len480_factors_10_8_6_wgs_64_tpt_16_halfLds_half_ip_CI_sbrr_dirReg,@function
fft_rtc_fwd_len480_factors_10_8_6_wgs_64_tpt_16_halfLds_half_ip_CI_sbrr_dirReg: ; @fft_rtc_fwd_len480_factors_10_8_6_wgs_64_tpt_16_halfLds_half_ip_CI_sbrr_dirReg
; %bb.0:
	s_load_dwordx2 s[12:13], s[0:1], 0x18
	s_load_dwordx4 s[4:7], s[0:1], 0x0
	s_load_dwordx2 s[10:11], s[0:1], 0x50
	v_lshrrev_b32_e32 v1, 4, v0
	v_lshl_or_b32 v6, s2, 2, v1
	s_waitcnt lgkmcnt(0)
	s_load_dwordx2 s[8:9], s[12:13], 0x0
	v_mov_b32_e32 v4, 0
	v_cmp_lt_u64_e64 s[2:3], s[6:7], 2
	v_mov_b32_e32 v7, v4
	s_and_b64 vcc, exec, s[2:3]
	v_mov_b64_e32 v[2:3], 0
	s_cbranch_vccnz .LBB0_8
; %bb.1:
	s_load_dwordx2 s[2:3], s[0:1], 0x10
	s_add_u32 s14, s12, 8
	s_addc_u32 s15, s13, 0
	s_mov_b64 s[16:17], 1
	v_mov_b64_e32 v[2:3], 0
	s_waitcnt lgkmcnt(0)
	s_add_u32 s18, s2, 8
	s_addc_u32 s19, s3, 0
.LBB0_2:                                ; =>This Inner Loop Header: Depth=1
	s_load_dwordx2 s[20:21], s[18:19], 0x0
                                        ; implicit-def: $vgpr8_vgpr9
	s_waitcnt lgkmcnt(0)
	v_or_b32_e32 v5, s21, v7
	v_cmp_ne_u64_e32 vcc, 0, v[4:5]
	s_and_saveexec_b64 s[2:3], vcc
	s_xor_b64 s[22:23], exec, s[2:3]
	s_cbranch_execz .LBB0_4
; %bb.3:                                ;   in Loop: Header=BB0_2 Depth=1
	v_cvt_f32_u32_e32 v5, s20
	v_cvt_f32_u32_e32 v8, s21
	s_sub_u32 s2, 0, s20
	s_subb_u32 s3, 0, s21
	v_fmac_f32_e32 v5, 0x4f800000, v8
	v_rcp_f32_e32 v5, v5
	s_nop 0
	v_mul_f32_e32 v5, 0x5f7ffffc, v5
	v_mul_f32_e32 v8, 0x2f800000, v5
	v_trunc_f32_e32 v8, v8
	v_fmac_f32_e32 v5, 0xcf800000, v8
	v_cvt_u32_f32_e32 v12, v8
	v_cvt_u32_f32_e32 v5, v5
	v_mul_lo_u32 v8, s2, v12
	v_mul_hi_u32 v10, s2, v5
	v_mul_lo_u32 v9, s3, v5
	v_add_u32_e32 v10, v10, v8
	v_mul_lo_u32 v13, s2, v5
	v_add_u32_e32 v14, v10, v9
	v_mul_hi_u32 v8, v5, v13
	v_mul_hi_u32 v11, v5, v14
	v_mul_lo_u32 v10, v5, v14
	v_mov_b32_e32 v9, v4
	v_lshl_add_u64 v[8:9], v[8:9], 0, v[10:11]
	v_mul_hi_u32 v11, v12, v13
	v_mul_lo_u32 v13, v12, v13
	v_add_co_u32_e32 v8, vcc, v8, v13
	v_mul_hi_u32 v10, v12, v14
	s_nop 0
	v_addc_co_u32_e32 v8, vcc, v9, v11, vcc
	v_mov_b32_e32 v9, v4
	s_nop 0
	v_addc_co_u32_e32 v11, vcc, 0, v10, vcc
	v_mul_lo_u32 v10, v12, v14
	v_lshl_add_u64 v[8:9], v[8:9], 0, v[10:11]
	v_add_co_u32_e32 v5, vcc, v5, v8
	v_mul_lo_u32 v10, s2, v5
	s_nop 0
	v_addc_co_u32_e32 v12, vcc, v12, v9, vcc
	v_mul_lo_u32 v8, s2, v12
	v_mul_hi_u32 v9, s2, v5
	v_add_u32_e32 v8, v9, v8
	v_mul_lo_u32 v9, s3, v5
	v_add_u32_e32 v13, v8, v9
	v_mul_hi_u32 v15, v12, v10
	v_mul_lo_u32 v16, v12, v10
	v_mul_hi_u32 v9, v5, v13
	v_mul_lo_u32 v8, v5, v13
	v_mul_hi_u32 v10, v5, v10
	v_mov_b32_e32 v11, v4
	v_lshl_add_u64 v[8:9], v[10:11], 0, v[8:9]
	v_add_co_u32_e32 v8, vcc, v8, v16
	v_mul_hi_u32 v14, v12, v13
	s_nop 0
	v_addc_co_u32_e32 v8, vcc, v9, v15, vcc
	v_mul_lo_u32 v10, v12, v13
	s_nop 0
	v_addc_co_u32_e32 v11, vcc, 0, v14, vcc
	v_mov_b32_e32 v9, v4
	v_lshl_add_u64 v[8:9], v[8:9], 0, v[10:11]
	v_add_co_u32_e32 v5, vcc, v5, v8
	v_mul_hi_u32 v10, v6, v5
	s_nop 0
	v_addc_co_u32_e32 v12, vcc, v12, v9, vcc
	v_mad_u64_u32 v[8:9], s[2:3], v6, v12, 0
	v_mov_b32_e32 v11, v4
	v_lshl_add_u64 v[8:9], v[10:11], 0, v[8:9]
	v_mad_u64_u32 v[10:11], s[2:3], v7, v12, 0
	v_mad_u64_u32 v[12:13], s[2:3], v7, v5, 0
	v_add_co_u32_e32 v5, vcc, v8, v12
	s_nop 1
	v_addc_co_u32_e32 v8, vcc, v9, v13, vcc
	v_mov_b32_e32 v9, v4
	s_nop 0
	v_addc_co_u32_e32 v11, vcc, 0, v11, vcc
	v_lshl_add_u64 v[8:9], v[8:9], 0, v[10:11]
	v_mul_lo_u32 v5, s21, v8
	v_mul_lo_u32 v12, s20, v9
	v_mad_u64_u32 v[10:11], s[2:3], s20, v8, 0
	v_add3_u32 v5, v11, v12, v5
	v_sub_u32_e32 v11, v7, v5
	v_mov_b32_e32 v12, s21
	v_sub_co_u32_e32 v14, vcc, v6, v10
	s_nop 1
	v_subb_co_u32_e64 v10, s[2:3], v11, v12, vcc
	v_subrev_co_u32_e64 v11, s[2:3], s20, v14
	v_subb_co_u32_e32 v5, vcc, v7, v5, vcc
	s_nop 0
	v_subbrev_co_u32_e64 v10, s[2:3], 0, v10, s[2:3]
	v_cmp_le_u32_e64 s[2:3], s21, v10
	v_cmp_le_u32_e32 vcc, s21, v5
	s_nop 0
	v_cndmask_b32_e64 v12, 0, -1, s[2:3]
	v_cmp_le_u32_e64 s[2:3], s20, v11
	s_nop 1
	v_cndmask_b32_e64 v11, 0, -1, s[2:3]
	v_cmp_eq_u32_e64 s[2:3], s21, v10
	s_nop 1
	v_cndmask_b32_e64 v15, v12, v11, s[2:3]
	v_lshl_add_u64 v[10:11], v[8:9], 0, 2
	v_lshl_add_u64 v[12:13], v[8:9], 0, 1
	v_cmp_ne_u32_e64 s[2:3], 0, v15
	s_nop 1
	v_cndmask_b32_e64 v11, v13, v11, s[2:3]
	v_cndmask_b32_e64 v13, 0, -1, vcc
	v_cmp_le_u32_e32 vcc, s20, v14
	s_nop 1
	v_cndmask_b32_e64 v14, 0, -1, vcc
	v_cmp_eq_u32_e32 vcc, s21, v5
	s_nop 1
	v_cndmask_b32_e32 v5, v13, v14, vcc
	v_cmp_ne_u32_e32 vcc, 0, v5
	v_cndmask_b32_e64 v5, v12, v10, s[2:3]
	s_nop 0
	v_cndmask_b32_e32 v9, v9, v11, vcc
	v_cndmask_b32_e32 v8, v8, v5, vcc
.LBB0_4:                                ;   in Loop: Header=BB0_2 Depth=1
	s_andn2_saveexec_b64 s[2:3], s[22:23]
	s_cbranch_execz .LBB0_6
; %bb.5:                                ;   in Loop: Header=BB0_2 Depth=1
	v_cvt_f32_u32_e32 v5, s20
	s_sub_i32 s22, 0, s20
	v_rcp_iflag_f32_e32 v5, v5
	s_nop 0
	v_mul_f32_e32 v5, 0x4f7ffffe, v5
	v_cvt_u32_f32_e32 v5, v5
	v_mul_lo_u32 v8, s22, v5
	v_mul_hi_u32 v8, v5, v8
	v_add_u32_e32 v5, v5, v8
	v_mul_hi_u32 v5, v6, v5
	v_mul_lo_u32 v8, v5, s20
	v_sub_u32_e32 v8, v6, v8
	v_add_u32_e32 v9, 1, v5
	v_subrev_u32_e32 v10, s20, v8
	v_cmp_le_u32_e32 vcc, s20, v8
	s_nop 1
	v_cndmask_b32_e32 v8, v8, v10, vcc
	v_cndmask_b32_e32 v5, v5, v9, vcc
	v_add_u32_e32 v9, 1, v5
	v_cmp_le_u32_e32 vcc, s20, v8
	s_nop 1
	v_cndmask_b32_e32 v8, v5, v9, vcc
	v_mov_b32_e32 v9, v4
.LBB0_6:                                ;   in Loop: Header=BB0_2 Depth=1
	s_or_b64 exec, exec, s[2:3]
	v_mad_u64_u32 v[10:11], s[2:3], v8, s20, 0
	s_load_dwordx2 s[2:3], s[14:15], 0x0
	v_mul_lo_u32 v5, v9, s20
	v_mul_lo_u32 v12, v8, s21
	v_add3_u32 v5, v11, v12, v5
	v_sub_co_u32_e32 v6, vcc, v6, v10
	s_add_u32 s16, s16, 1
	s_nop 0
	v_subb_co_u32_e32 v5, vcc, v7, v5, vcc
	s_addc_u32 s17, s17, 0
	s_waitcnt lgkmcnt(0)
	v_mul_lo_u32 v5, s2, v5
	v_mul_lo_u32 v7, s3, v6
	v_mad_u64_u32 v[2:3], s[2:3], s2, v6, v[2:3]
	s_add_u32 s14, s14, 8
	v_add3_u32 v3, v7, v3, v5
	s_addc_u32 s15, s15, 0
	v_mov_b64_e32 v[6:7], s[6:7]
	s_add_u32 s18, s18, 8
	v_cmp_ge_u64_e32 vcc, s[16:17], v[6:7]
	s_addc_u32 s19, s19, 0
	s_cbranch_vccnz .LBB0_9
; %bb.7:                                ;   in Loop: Header=BB0_2 Depth=1
	v_mov_b64_e32 v[6:7], v[8:9]
	s_branch .LBB0_2
.LBB0_8:
	v_mov_b64_e32 v[8:9], v[6:7]
.LBB0_9:
	s_lshl_b64 s[2:3], s[6:7], 3
	s_add_u32 s2, s12, s2
	s_addc_u32 s3, s13, s3
	s_load_dwordx2 s[6:7], s[2:3], 0x0
	s_load_dwordx2 s[12:13], s[0:1], 0x20
	v_and_b32_e32 v18, 15, v0
	v_or_b32_e32 v22, 16, v18
	v_or_b32_e32 v21, 32, v18
	s_waitcnt lgkmcnt(0)
	v_mul_lo_u32 v4, s6, v9
	v_mul_lo_u32 v5, s7, v8
	v_mad_u64_u32 v[2:3], s[0:1], s6, v8, v[2:3]
	v_add3_u32 v3, v5, v3, v4
	v_cmp_gt_u64_e32 vcc, s[12:13], v[8:9]
	v_cmp_le_u64_e64 s[0:1], s[12:13], v[8:9]
	v_or_b32_e32 v19, 48, v18
                                        ; implicit-def: $vgpr23
                                        ; implicit-def: $vgpr24
                                        ; implicit-def: $vgpr25
	s_and_saveexec_b64 s[2:3], s[0:1]
	s_xor_b64 s[0:1], exec, s[2:3]
; %bb.10:
	v_or_b32_e32 v23, 16, v18
	v_or_b32_e32 v24, 32, v18
	;; [unrolled: 1-line block ×3, first 2 shown]
; %bb.11:
	s_or_saveexec_b64 s[0:1], s[0:1]
	v_lshl_add_u64 v[16:17], v[2:3], 2, s[10:11]
	v_or_b32_e32 v20, 64, v18
                                        ; implicit-def: $vgpr51
                                        ; implicit-def: $vgpr26
                                        ; implicit-def: $vgpr52
                                        ; implicit-def: $vgpr3
                                        ; implicit-def: $vgpr53
                                        ; implicit-def: $vgpr0
                                        ; implicit-def: $vgpr54
                                        ; implicit-def: $vgpr2
                                        ; implicit-def: $vgpr55
                                        ; implicit-def: $vgpr7
                                        ; implicit-def: $vgpr46
                                        ; implicit-def: $vgpr27
                                        ; implicit-def: $vgpr47
                                        ; implicit-def: $vgpr12
                                        ; implicit-def: $vgpr48
                                        ; implicit-def: $vgpr11
                                        ; implicit-def: $vgpr49
                                        ; implicit-def: $vgpr9
                                        ; implicit-def: $vgpr50
                                        ; implicit-def: $vgpr39
                                        ; implicit-def: $vgpr40
                                        ; implicit-def: $vgpr28
                                        ; implicit-def: $vgpr41
                                        ; implicit-def: $vgpr31
                                        ; implicit-def: $vgpr43
                                        ; implicit-def: $vgpr32
                                        ; implicit-def: $vgpr44
                                        ; implicit-def: $vgpr34
                                        ; implicit-def: $vgpr45
                                        ; implicit-def: $vgpr42
                                        ; implicit-def: $vgpr36
                                        ; implicit-def: $vgpr15
                                        ; implicit-def: $vgpr37
                                        ; implicit-def: $vgpr35
                                        ; implicit-def: $vgpr30
                                        ; implicit-def: $vgpr10
                                        ; implicit-def: $vgpr13
                                        ; implicit-def: $vgpr38
                                        ; implicit-def: $vgpr14
                                        ; implicit-def: $vgpr33
                                        ; implicit-def: $vgpr5
                                        ; implicit-def: $vgpr6
                                        ; implicit-def: $vgpr4
                                        ; implicit-def: $vgpr8
                                        ; implicit-def: $vgpr29
	s_xor_b64 exec, exec, s[0:1]
	s_cbranch_execz .LBB0_13
; %bb.12:
	v_mad_u64_u32 v[2:3], s[2:3], s8, v18, 0
	v_mov_b32_e32 v0, v3
	v_mad_u64_u32 v[4:5], s[2:3], s9, v18, v[0:1]
	v_mov_b32_e32 v3, v4
	v_lshl_add_u64 v[2:3], v[2:3], 2, v[16:17]
	global_load_dword v26, v[2:3], off
	v_mad_u64_u32 v[2:3], s[2:3], s8, v19, 0
	v_mov_b32_e32 v0, v3
	v_mad_u64_u32 v[4:5], s[2:3], s9, v19, v[0:1]
	v_mov_b32_e32 v3, v4
	v_or_b32_e32 v4, 0x60, v18
	v_lshl_add_u64 v[8:9], v[2:3], 2, v[16:17]
	v_mad_u64_u32 v[2:3], s[2:3], s8, v4, 0
	v_mov_b32_e32 v0, v3
	v_mad_u64_u32 v[4:5], s[2:3], s9, v4, v[0:1]
	v_mov_b32_e32 v3, v4
	v_or_b32_e32 v4, 0x90, v18
	v_lshl_add_u64 v[10:11], v[2:3], 2, v[16:17]
	;; [unrolled: 6-line block ×8, first 2 shown]
	v_mad_u64_u32 v[2:3], s[2:3], s8, v4, 0
	v_mov_b32_e32 v0, v3
	v_mad_u64_u32 v[4:5], s[2:3], s9, v4, v[0:1]
	v_mov_b32_e32 v3, v4
	v_lshl_add_u64 v[36:37], v[2:3], 2, v[16:17]
	global_load_dword v4, v[32:33], off
	global_load_dword v2, v[30:31], off
	;; [unrolled: 1-line block ×7, first 2 shown]
	v_mad_u64_u32 v[8:9], s[2:3], s8, v22, 0
	v_mov_b32_e32 v10, v9
	v_mad_u64_u32 v[10:11], s[2:3], s9, v22, v[10:11]
	v_mov_b32_e32 v9, v10
	v_lshl_add_u64 v[10:11], v[8:9], 2, v[16:17]
	global_load_dword v7, v[34:35], off
	global_load_dword v8, v[36:37], off
	;; [unrolled: 1-line block ×3, first 2 shown]
	v_mad_u64_u32 v[10:11], s[2:3], s8, v20, 0
	v_mov_b32_e32 v12, v11
	v_mad_u64_u32 v[12:13], s[2:3], s9, v20, v[12:13]
	v_mov_b32_e32 v11, v12
	v_or_b32_e32 v9, 0x70, v18
	v_lshl_add_u64 v[14:15], v[10:11], 2, v[16:17]
	v_mad_u64_u32 v[10:11], s[2:3], s8, v9, 0
	v_mov_b32_e32 v12, v11
	v_mad_u64_u32 v[12:13], s[2:3], s9, v9, v[12:13]
	v_mov_b32_e32 v11, v12
	v_or_b32_e32 v9, 0xa0, v18
	v_lshl_add_u64 v[24:25], v[10:11], 2, v[16:17]
	;; [unrolled: 6-line block ×5, first 2 shown]
	v_mad_u64_u32 v[10:11], s[2:3], s8, v9, 0
	v_mov_b32_e32 v12, v11
	v_mad_u64_u32 v[12:13], s[2:3], s9, v9, v[12:13]
	v_mov_b32_e32 v11, v12
	v_lshl_add_u64 v[10:11], v[10:11], 2, v[16:17]
	v_or_b32_e32 v13, 0x160, v18
	global_load_dword v9, v[10:11], off
	v_mad_u64_u32 v[10:11], s[2:3], s8, v13, 0
	v_mov_b32_e32 v12, v11
	v_mad_u64_u32 v[12:13], s[2:3], s9, v13, v[12:13]
	v_mov_b32_e32 v11, v12
	v_or_b32_e32 v13, 0x190, v18
	v_lshl_add_u64 v[40:41], v[10:11], 2, v[16:17]
	v_mad_u64_u32 v[10:11], s[2:3], s8, v13, 0
	v_mov_b32_e32 v12, v11
	v_mad_u64_u32 v[12:13], s[2:3], s9, v13, v[12:13]
	v_mov_b32_e32 v11, v12
	v_or_b32_e32 v13, 0x1c0, v18
	v_lshl_add_u64 v[42:43], v[10:11], 2, v[16:17]
	v_mad_u64_u32 v[10:11], s[2:3], s8, v13, 0
	v_mov_b32_e32 v12, v11
	v_mad_u64_u32 v[12:13], s[2:3], s9, v13, v[12:13]
	v_mov_b32_e32 v11, v12
	v_lshl_add_u64 v[38:39], v[10:11], 2, v[16:17]
	global_load_dword v10, v[36:37], off
	global_load_dword v11, v[34:35], off
	;; [unrolled: 1-line block ×5, first 2 shown]
	v_mad_u64_u32 v[14:15], s[2:3], s8, v21, 0
	v_mov_b32_e32 v24, v15
	v_mad_u64_u32 v[24:25], s[2:3], s9, v21, v[24:25]
	v_mov_b32_e32 v15, v24
	v_lshl_add_u64 v[24:25], v[14:15], 2, v[16:17]
	v_or_b32_e32 v15, 0x50, v18
	global_load_dword v14, v[38:39], off
	global_load_dword v28, v[24:25], off
	v_mad_u64_u32 v[24:25], s[2:3], s8, v15, 0
	v_mov_b32_e32 v30, v25
	v_mad_u64_u32 v[30:31], s[2:3], s9, v15, v[30:31]
	v_or_b32_e32 v15, 0x80, v18
	v_mov_b32_e32 v25, v30
	v_mad_u64_u32 v[30:31], s[2:3], s8, v15, 0
	v_mov_b32_e32 v32, v31
	v_lshl_add_u64 v[24:25], v[24:25], 2, v[16:17]
	v_or_b32_e32 v23, 0xe0, v18
	s_waitcnt vmcnt(18)
	v_lshrrev_b32_e32 v51, 16, v26
	s_waitcnt vmcnt(12)
	v_lshrrev_b32_e32 v52, 16, v3
	v_lshrrev_b32_e32 v53, 16, v0
	;; [unrolled: 1-line block ×3, first 2 shown]
	s_waitcnt vmcnt(10)
	v_lshrrev_b32_e32 v55, 16, v7
	s_waitcnt vmcnt(8)
	v_lshrrev_b32_e32 v46, 16, v27
	;; [unrolled: 2-line block ×5, first 2 shown]
	s_waitcnt vmcnt(2)
	v_mad_u64_u32 v[34:35], s[2:3], s9, v15, v[32:33]
	v_mov_b32_e32 v31, v34
	v_or_b32_e32 v15, 0xb0, v18
	v_lshl_add_u64 v[34:35], v[30:31], 2, v[16:17]
	v_mad_u64_u32 v[30:31], s[2:3], s8, v15, 0
	v_mov_b32_e32 v32, v31
	v_mad_u64_u32 v[36:37], s[2:3], s9, v15, v[32:33]
	v_mov_b32_e32 v31, v36
	v_lshl_add_u64 v[36:37], v[30:31], 2, v[16:17]
	global_load_dword v15, v[36:37], off
	global_load_dword v31, v[34:35], off
	;; [unrolled: 1-line block ×5, first 2 shown]
	v_mad_u64_u32 v[24:25], s[2:3], s8, v23, 0
	v_mov_b32_e32 v32, v25
	v_mad_u64_u32 v[34:35], s[2:3], s9, v23, v[32:33]
	v_mov_b32_e32 v25, v34
	v_lshl_add_u64 v[24:25], v[24:25], 2, v[16:17]
	v_or_b32_e32 v23, 0x110, v18
	global_load_dword v32, v[24:25], off
	v_mad_u64_u32 v[24:25], s[2:3], s8, v23, 0
	v_mov_b32_e32 v34, v25
	v_mad_u64_u32 v[34:35], s[2:3], s9, v23, v[34:35]
	v_or_b32_e32 v23, 0x140, v18
	v_mov_b32_e32 v25, v34
	v_mad_u64_u32 v[34:35], s[2:3], s8, v23, 0
	v_mov_b32_e32 v36, v35
	v_mad_u64_u32 v[36:37], s[2:3], s9, v23, v[36:37]
	v_or_b32_e32 v23, 0x170, v18
	v_mov_b32_e32 v35, v36
	v_mad_u64_u32 v[36:37], s[2:3], s8, v23, 0
	v_mov_b32_e32 v40, v37
	v_mad_u64_u32 v[40:41], s[2:3], s9, v23, v[40:41]
	v_mov_b32_e32 v37, v40
	v_or_b32_e32 v23, 0x1a0, v18
	v_lshl_add_u64 v[40:41], v[36:37], 2, v[16:17]
	v_mad_u64_u32 v[36:37], s[2:3], s8, v23, 0
	v_mov_b32_e32 v42, v37
	v_mad_u64_u32 v[42:43], s[2:3], s9, v23, v[42:43]
	v_or_b32_e32 v23, 0x1d0, v18
	v_mad_u64_u32 v[44:45], s[2:3], s8, v23, 0
	v_mov_b32_e32 v37, v42
	v_mov_b32_e32 v42, v45
	v_mad_u64_u32 v[42:43], s[2:3], s9, v23, v[42:43]
	v_mov_b32_e32 v45, v42
	v_lshl_add_u64 v[34:35], v[34:35], 2, v[16:17]
	v_lshl_add_u64 v[36:37], v[36:37], 2, v[16:17]
	;; [unrolled: 1-line block ×4, first 2 shown]
	global_load_dword v34, v[34:35], off
	v_mov_b32_e32 v23, v22
	global_load_dword v42, v[36:37], off
	global_load_dword v35, v[44:45], off
	s_nop 0
	global_load_dword v37, v[40:41], off
	global_load_dword v36, v[24:25], off
	s_waitcnt vmcnt(11)
	v_lshrrev_b32_e32 v40, 16, v28
	v_mov_b32_e32 v25, v19
	v_mov_b32_e32 v24, v21
	s_waitcnt vmcnt(9)
	v_lshrrev_b32_e32 v41, 16, v31
	s_waitcnt vmcnt(7)
	v_lshrrev_b32_e32 v50, 16, v39
	;; [unrolled: 2-line block ×5, first 2 shown]
.LBB0_13:
	s_or_b64 exec, exec, s[0:1]
	v_sub_f16_e32 v58, v3, v0
	v_sub_f16_e32 v59, v7, v2
	v_add_f16_e32 v58, v58, v59
	v_add_f16_e32 v59, v3, v7
	s_movk_i32 s10, 0x3b9c
	v_sub_f16_e32 v57, v53, v54
	s_mov_b32 s11, 0xbb9c
	v_fma_f16 v59, v59, -0.5, v26
	v_sub_f16_e32 v56, v52, v55
	s_movk_i32 s7, 0x38b4
	s_mov_b32 s6, 0xb8b4
	v_fma_f16 v60, v57, s11, v59
	v_sub_f16_e32 v61, v0, v3
	v_sub_f16_e32 v62, v2, v7
	v_fma_f16 v59, v57, s10, v59
	s_movk_i32 s12, 0x34f2
	v_fma_f16 v60, v56, s7, v60
	v_add_f16_e32 v61, v61, v62
	v_fma_f16 v59, v56, s6, v59
	v_fma_f16 v60, v61, s12, v60
	;; [unrolled: 1-line block ×3, first 2 shown]
	v_pk_add_f16 v61, v6, v5 neg_lo:[0,1] neg_hi:[0,1]
	v_pk_add_f16 v62, v8, v4 neg_lo:[0,1] neg_hi:[0,1]
	;; [unrolled: 1-line block ×3, first 2 shown]
	v_pk_add_f16 v65, v61, v62
	v_pk_add_f16 v61, v6, v8
	v_sub_f16_sdwa v67, v6, v5 dst_sel:DWORD dst_unused:UNUSED_PAD src0_sel:WORD_1 src1_sel:WORD_1
	v_sub_f16_sdwa v68, v8, v4 dst_sel:DWORD dst_unused:UNUSED_PAD src0_sel:WORD_1 src1_sel:WORD_1
	v_pk_add_f16 v63, v6, v8 neg_lo:[0,1] neg_hi:[0,1]
	v_pk_add_f16 v62, v5, v6 neg_lo:[0,1] neg_hi:[0,1]
	;; [unrolled: 1-line block ×3, first 2 shown]
	v_add_f16_e32 v67, v67, v68
	v_pk_fma_f16 v61, v61, 0.5, v29 op_sel_hi:[1,0,1] neg_lo:[1,0,0] neg_hi:[1,0,0]
	v_pk_mul_f16 v68, v64, s10 op_sel_hi:[1,0]
	v_pk_add_f16 v62, v62, v66
	v_pk_add_f16 v66, v68, v61 op_sel:[1,0] op_sel_hi:[0,1]
	v_pk_add_f16 v68, v61, v68 op_sel:[0,1] op_sel_hi:[1,0] neg_lo:[0,1] neg_hi:[0,1]
	v_pk_mul_f16 v69, v63, s7 op_sel_hi:[1,0]
	v_add_f16_e32 v73, v5, v4
	v_pk_add_f16 v61, v66, v69 op_sel:[0,1] op_sel_hi:[1,0] neg_lo:[0,1] neg_hi:[0,1]
	v_pk_add_f16 v66, v69, v68 op_sel:[1,0] op_sel_hi:[0,1]
	v_pk_fma_f16 v61, v62, s12, v61 op_sel_hi:[1,0,1]
	v_pk_fma_f16 v62, v62, s12, v66 op_sel_hi:[1,0,1]
	v_lshrrev_b32_e32 v68, 16, v61
	v_mul_f16_e32 v66, 0x34f2, v62
	v_fma_f16 v66, v68, s10, v66
	v_mul_f16_e32 v68, 0x34f2, v61
	v_lshrrev_b32_e32 v69, 16, v62
	s_mov_b32 s13, 0xffff
	v_fma_f16 v68, v69, s10, -v68
	v_fma_f16 v73, v73, -0.5, v29
	v_bfi_b32 v65, s13, v65, v64
	s_mov_b32 s0, 0x38b434f2
	v_lshrrev_b32_e32 v74, 16, v63
	v_add_f16_e32 v69, v60, v66
	v_add_f16_e32 v70, v59, v68
	v_pk_mul_f16 v65, v65, s0
	v_fma_f16 v75, v74, s10, v73
	v_pack_b32_f16 v69, v69, v70
	v_add_f16_e32 v70, v0, v2
	v_add_f16_e32 v72, v29, v6
	v_add_f16_sdwa v75, v65, v75 dst_sel:DWORD dst_unused:UNUSED_PAD src0_sel:WORD_1 src1_sel:DWORD
	v_lshrrev_b32_e32 v93, 16, v29
	v_add_f16_sdwa v29, v5, v4 dst_sel:DWORD dst_unused:UNUSED_PAD src0_sel:WORD_1 src1_sel:WORD_1
	v_fma_f16 v70, v70, -0.5, v26
	v_add_f16_e32 v91, v65, v75
	v_fma_f16 v75, v29, -0.5, v93
	v_fma_f16 v71, v56, s10, v70
	v_fma_f16 v29, v63, s11, v75
	;; [unrolled: 1-line block ×3, first 2 shown]
	v_add_f16_e32 v26, v26, v3
	v_fma_f16 v71, v57, s7, v71
	v_fma_f16 v29, v64, s6, v29
	v_fma_f16 v56, v57, s6, v56
	v_fma_f16 v57, v74, s11, v73
	v_add_f16_e32 v26, v26, v0
	v_add_f16_e32 v72, v72, v5
	v_fma_f16 v92, v67, s12, v29
	v_sub_f16_sdwa v57, v57, v65 dst_sel:DWORD dst_unused:UNUSED_PAD src0_sel:DWORD src1_sel:WORD_1
	v_add_f16_e32 v26, v26, v2
	v_add_f16_e32 v72, v72, v4
	s_movk_i32 s14, 0x3a79
	v_mul_f16_e32 v29, 0x38b4, v92
	v_add_f16_e32 v94, v65, v57
	v_fma_f16 v57, v63, s10, v75
	v_add_f16_e32 v26, v26, v7
	v_fma_f16 v71, v58, s12, v71
	;; [unrolled: 2-line block ×3, first 2 shown]
	v_fma_f16 v57, v64, s7, v57
	v_add_f16_e32 v29, v26, v72
	v_add_f16_e32 v77, v71, v76
	v_mul_u32_u24_e32 v1, 0x1e0, v1
	v_fma_f16 v56, v58, s12, v56
	v_fma_f16 v95, v67, s12, v57
	v_sub_f16_e32 v58, v60, v66
	v_mul_f16_e32 v60, 0x3a79, v94
	v_pack_b32_f16 v77, v29, v77
	v_lshlrev_b32_e32 v29, 1, v1
	v_fma_f16 v60, v95, s7, -v60
	v_mul_u32_u24_e32 v1, 10, v18
	v_add_u32_e32 v78, 0, v29
	v_sub_f16_e32 v26, v26, v72
	v_sub_f16_e32 v57, v71, v76
	v_add_f16_e32 v63, v56, v60
	v_lshl_add_u32 v1, v1, 1, v78
	v_pack_b32_f16 v57, v57, v58
	v_pack_b32_f16 v26, v63, v26
	ds_write2_b32 v1, v26, v57 offset0:2 offset1:3
	v_sub_f16_e32 v26, v11, v12
	v_sub_f16_e32 v57, v9, v39
	v_add_f16_e32 v26, v26, v57
	v_add_f16_e32 v57, v12, v39
	v_sub_f16_e32 v56, v56, v60
	v_sub_f16_e32 v60, v12, v11
	;; [unrolled: 1-line block ×3, first 2 shown]
	v_fma_f16 v57, v57, -0.5, v27
	v_sub_f16_e32 v63, v48, v49
	v_add_f16_e32 v60, v60, v64
	v_sub_f16_e32 v58, v47, v50
	v_fma_f16 v64, v63, s11, v57
	v_fma_f16 v57, v63, s10, v57
	;; [unrolled: 1-line block ×6, first 2 shown]
	v_pk_add_f16 v57, v13, v10 neg_lo:[0,1] neg_hi:[0,1]
	v_pk_add_f16 v65, v14, v38 neg_lo:[0,1] neg_hi:[0,1]
	v_sub_f16_sdwa v66, v14, v38 dst_sel:DWORD dst_unused:UNUSED_PAD src0_sel:WORD_1 src1_sel:WORD_1
	v_pk_add_f16 v57, v57, v65
	v_sub_f16_sdwa v65, v13, v10 dst_sel:DWORD dst_unused:UNUSED_PAD src0_sel:WORD_1 src1_sel:WORD_1
	v_add_f16_e32 v65, v65, v66
	v_pk_add_f16 v66, v10, v13 neg_lo:[0,1] neg_hi:[0,1]
	v_pk_add_f16 v67, v38, v14 neg_lo:[0,1] neg_hi:[0,1]
	v_sub_f16_e32 v59, v59, v68
	v_pk_add_f16 v66, v66, v67
	v_pk_add_f16 v67, v13, v14
	v_pk_add_f16 v68, v10, v38 neg_lo:[0,1] neg_hi:[0,1]
	ds_write2_b32 v1, v77, v69 offset1:1
	v_pk_fma_f16 v67, v67, 0.5, v33 op_sel_hi:[1,0,1] neg_lo:[1,0,0] neg_hi:[1,0,0]
	v_pk_mul_f16 v69, v68, s10 op_sel_hi:[1,0]
	v_add_f16_e32 v72, v10, v38
	v_pk_add_f16 v70, v69, v67 op_sel:[1,0] op_sel_hi:[0,1]
	v_pk_add_f16 v67, v67, v69 op_sel:[0,1] op_sel_hi:[1,0] neg_lo:[0,1] neg_hi:[0,1]
	v_pk_add_f16 v69, v13, v14 neg_lo:[0,1] neg_hi:[0,1]
	v_fma_f16 v72, v72, -0.5, v33
	v_pk_mul_f16 v71, v69, s7 op_sel_hi:[1,0]
	v_bfi_b32 v57, s13, v57, v68
	v_pk_add_f16 v70, v70, v71 op_sel:[0,1] op_sel_hi:[1,0] neg_lo:[0,1] neg_hi:[0,1]
	v_pk_add_f16 v67, v71, v67 op_sel:[1,0] op_sel_hi:[0,1]
	v_pk_fma_f16 v96, v66, s12, v70 op_sel_hi:[1,0,1]
	v_pk_fma_f16 v97, v66, s12, v67 op_sel_hi:[1,0,1]
	v_lshrrev_b32_e32 v67, 16, v96
	v_mul_f16_e32 v66, 0x34f2, v97
	v_fma_f16 v66, v67, s10, v66
	v_mul_f16_e32 v67, 0x34f2, v96
	v_lshrrev_b32_e32 v70, 16, v97
	v_lshrrev_b32_e32 v73, 16, v69
	v_fma_f16 v67, v70, s10, -v67
	v_pack_b32_f16 v56, v59, v56
	v_add_f16_e32 v71, v33, v13
	v_pk_mul_f16 v57, v57, s0
	v_fma_f16 v74, v73, s10, v72
	v_lshrrev_b32_e32 v100, 16, v33
	v_add_f16_sdwa v33, v10, v38 dst_sel:DWORD dst_unused:UNUSED_PAD src0_sel:WORD_1 src1_sel:WORD_1
	ds_write_b32 v1, v56 offset:16
	v_add_f16_e32 v56, v64, v66
	v_add_f16_e32 v59, v26, v67
	v_add_f16_sdwa v74, v57, v74 dst_sel:DWORD dst_unused:UNUSED_PAD src0_sel:WORD_1 src1_sel:DWORD
	v_fma_f16 v33, v33, -0.5, v100
	v_pack_b32_f16 v56, v56, v59
	v_add_f16_e32 v59, v11, v9
	v_add_f16_e32 v98, v57, v74
	v_fma_f16 v74, v69, s11, v33
	v_fma_f16 v59, v59, -0.5, v27
	v_add_f16_e32 v27, v27, v12
	v_fma_f16 v74, v68, s6, v74
	v_add_f16_e32 v27, v27, v11
	v_fma_f16 v70, v58, s10, v59
	;; [unrolled: 2-line block ×4, first 2 shown]
	v_add_f16_e32 v71, v71, v38
	v_mul_f16_e32 v74, 0x38b4, v99
	v_add_f16_e32 v27, v27, v39
	v_fma_f16 v70, v60, s12, v70
	v_add_f16_e32 v71, v71, v14
	v_fma_f16 v74, v98, s14, v74
	v_add_f16_e32 v75, v27, v71
	v_add_f16_e32 v76, v70, v74
	v_pack_b32_f16 v75, v75, v76
	v_mul_i32_i24_e32 v76, 10, v23
	v_lshl_add_u32 v90, v76, 1, v78
	ds_write2_b32 v90, v75, v56 offset1:1
	v_fma_f16 v56, v58, s11, v59
	v_fma_f16 v58, v73, s11, v72
	;; [unrolled: 1-line block ×3, first 2 shown]
	v_sub_f16_sdwa v58, v58, v57 dst_sel:DWORD dst_unused:UNUSED_PAD src0_sel:DWORD src1_sel:WORD_1
	v_fma_f16 v33, v68, s7, v33
	v_add_f16_e32 v101, v57, v58
	v_fma_f16 v102, v65, s12, v33
	v_sub_f16_e32 v33, v70, v74
	v_sub_f16_e32 v57, v64, v66
	v_fma_f16 v56, v63, s6, v56
	v_pack_b32_f16 v33, v33, v57
	v_mul_f16_e32 v57, 0x3a79, v101
	v_fma_f16 v56, v60, s12, v56
	v_fma_f16 v57, v102, s7, -v57
	v_sub_f16_e32 v27, v27, v71
	v_add_f16_e32 v58, v56, v57
	v_pack_b32_f16 v27, v58, v27
	ds_write2_b32 v90, v27, v33 offset0:2 offset1:3
	v_sub_f16_e32 v27, v56, v57
	v_sub_f16_e32 v33, v31, v32
	;; [unrolled: 1-line block ×3, first 2 shown]
	v_add_f16_e32 v33, v33, v56
	v_sub_f16_e32 v56, v32, v31
	v_sub_f16_e32 v57, v34, v42
	v_add_f16_e32 v56, v56, v57
	v_add_f16_e32 v57, v31, v42
	v_fma_f16 v57, v57, -0.5, v28
	v_sub_f16_e32 v59, v43, v44
	v_sub_f16_e32 v58, v41, v45
	v_fma_f16 v60, v59, s11, v57
	v_fma_f16 v57, v59, s10, v57
	;; [unrolled: 1-line block ×6, first 2 shown]
	v_add_f16_e32 v57, v32, v34
	s_mov_b32 s1, 0x5040100
	v_fma_f16 v57, v57, -0.5, v28
	v_perm_b32 v28, v30, v28, s1
	v_perm_b32 v63, v15, v31, s1
	v_pk_add_f16 v28, v28, v63
	s_waitcnt vmcnt(0)
	v_perm_b32 v63, v36, v32, s1
	v_pk_add_f16 v28, v28, v63
	v_perm_b32 v63, v37, v34, s1
	v_pk_add_f16 v28, v28, v63
	;; [unrolled: 2-line block ×3, first 2 shown]
	v_pk_add_f16 v63, v15, v36 neg_lo:[0,1] neg_hi:[0,1]
	v_pk_add_f16 v64, v35, v37 neg_lo:[0,1] neg_hi:[0,1]
	v_sub_f16_sdwa v65, v35, v37 dst_sel:DWORD dst_unused:UNUSED_PAD src0_sel:WORD_1 src1_sel:WORD_1
	v_pk_add_f16 v63, v63, v64
	v_sub_f16_sdwa v64, v15, v36 dst_sel:DWORD dst_unused:UNUSED_PAD src0_sel:WORD_1 src1_sel:WORD_1
	v_add_f16_e32 v64, v64, v65
	v_pk_add_f16 v65, v36, v15 neg_lo:[0,1] neg_hi:[0,1]
	v_pk_add_f16 v66, v37, v35 neg_lo:[0,1] neg_hi:[0,1]
	v_sub_f16_e32 v26, v26, v67
	v_pk_add_f16 v65, v65, v66
	v_pk_add_f16 v66, v15, v35
	v_pk_add_f16 v67, v36, v37 neg_lo:[0,1] neg_hi:[0,1]
	v_pk_fma_f16 v66, v66, 0.5, v30 op_sel_hi:[1,0,1] neg_lo:[1,0,0] neg_hi:[1,0,0]
	v_pk_mul_f16 v68, v67, s10 op_sel_hi:[1,0]
	v_bfi_b32 v63, s13, v63, v67
	v_pk_add_f16 v69, v68, v66 op_sel:[1,0] op_sel_hi:[0,1]
	v_pk_add_f16 v66, v66, v68 op_sel:[0,1] op_sel_hi:[1,0] neg_lo:[0,1] neg_hi:[0,1]
	v_pk_add_f16 v68, v15, v35 neg_lo:[0,1] neg_hi:[0,1]
	v_pk_mul_f16 v63, v63, s0
	v_pk_mul_f16 v70, v68, s7 op_sel_hi:[1,0]
	v_lshrrev_b32_e32 v108, 16, v30
	v_pk_add_f16 v69, v69, v70 op_sel:[0,1] op_sel_hi:[1,0] neg_lo:[0,1] neg_hi:[0,1]
	v_pk_add_f16 v66, v70, v66 op_sel:[1,0] op_sel_hi:[0,1]
	v_pk_fma_f16 v103, v65, s12, v69 op_sel_hi:[1,0,1]
	v_pk_fma_f16 v104, v65, s12, v66 op_sel_hi:[1,0,1]
	v_lshrrev_b32_e32 v66, 16, v103
	v_mul_f16_e32 v65, 0x34f2, v104
	v_fma_f16 v66, v66, s10, v65
	v_mul_f16_e32 v65, 0x34f2, v103
	v_lshrrev_b32_e32 v69, 16, v104
	v_fma_f16 v69, v69, s10, -v65
	v_add_f16_e32 v65, v36, v37
	v_fma_f16 v65, v65, -0.5, v30
	v_lshrrev_b32_e32 v70, 16, v68
	v_fma_f16 v71, v70, s10, v65
	v_add_f16_sdwa v30, v36, v37 dst_sel:DWORD dst_unused:UNUSED_PAD src0_sel:WORD_1 src1_sel:WORD_1
	v_add_f16_sdwa v71, v63, v71 dst_sel:DWORD dst_unused:UNUSED_PAD src0_sel:WORD_1 src1_sel:DWORD
	v_fma_f16 v30, v30, -0.5, v108
	v_pack_b32_f16 v26, v26, v27
	v_add_f16_e32 v106, v63, v71
	v_fma_f16 v71, v68, s11, v30
	ds_write_b32 v90, v26 offset:16
	v_add_f16_e32 v26, v60, v66
	v_add_f16_e32 v27, v56, v69
	v_fma_f16 v71, v67, s6, v71
	v_pack_b32_f16 v26, v26, v27
	v_fma_f16 v27, v58, s10, v57
	v_fma_f16 v107, v64, s12, v71
	;; [unrolled: 1-line block ×3, first 2 shown]
	v_mul_f16_e32 v71, 0x38b4, v107
	v_fma_f16 v27, v33, s12, v27
	v_fma_f16 v71, v106, s14, v71
	v_add_f16_sdwa v72, v28, v28 dst_sel:DWORD dst_unused:UNUSED_PAD src0_sel:DWORD src1_sel:WORD_1
	v_add_f16_e32 v73, v27, v71
	v_pack_b32_f16 v72, v72, v73
	v_mul_i32_i24_e32 v73, 10, v24
	v_lshl_add_u32 v105, v73, 1, v78
	ds_write2_b32 v105, v72, v26 offset1:1
	v_fma_f16 v26, v58, s11, v57
	v_fma_f16 v26, v59, s6, v26
	;; [unrolled: 1-line block ×4, first 2 shown]
	v_sub_f16_sdwa v33, v33, v63 dst_sel:DWORD dst_unused:UNUSED_PAD src0_sel:DWORD src1_sel:WORD_1
	v_fma_f16 v30, v68, s10, v30
	v_add_f16_e32 v109, v63, v33
	v_fma_f16 v30, v67, s7, v30
	v_fma_f16 v110, v64, s12, v30
	v_sub_f16_e32 v65, v27, v71
	v_mul_f16_e32 v27, 0x3a79, v109
	v_fma_f16 v27, v110, s7, -v27
	v_sub_f16_e32 v64, v60, v66
	v_sub_f16_e32 v33, v56, v69
	;; [unrolled: 1-line block ×3, first 2 shown]
	v_add_f16_e32 v57, v26, v27
	v_pack_b32_f16 v26, v33, v66
	v_sub_f16_sdwa v68, v28, v28 dst_sel:DWORD dst_unused:UNUSED_PAD src0_sel:DWORD src1_sel:WORD_1
	ds_write_b32 v105, v26 offset:16
	v_lshlrev_b32_e32 v26, 1, v18
	v_pack_b32_f16 v28, v65, v64
	v_pack_b32_f16 v30, v57, v68
	v_add_u32_e32 v27, v78, v26
	ds_write2_b32 v105, v30, v28 offset0:2 offset1:3
	s_waitcnt lgkmcnt(0)
	; wave barrier
	s_waitcnt lgkmcnt(0)
	v_add3_u32 v26, 0, v26, v29
	v_lshl_add_u32 v28, v23, 1, v78
	v_lshl_add_u32 v30, v24, 1, v78
	ds_read_u16 v69, v27
	ds_read_u16 v85, v26 offset:120
	ds_read_u16 v80, v26 offset:152
	;; [unrolled: 1-line block ×17, first 2 shown]
	ds_read_u16 v63, v30
	ds_read_u16 v67, v28
	ds_read_u16 v73, v26 offset:904
	ds_read_u16 v83, v26 offset:872
	;; [unrolled: 1-line block ×4, first 2 shown]
	v_cmp_gt_u32_e64 s[0:1], 12, v18
	v_lshlrev_b32_e32 v56, 1, v25
                                        ; implicit-def: $vgpr72
                                        ; implicit-def: $vgpr70
	s_and_saveexec_b64 s[2:3], s[0:1]
	s_cbranch_execz .LBB0_15
; %bb.14:
	v_add3_u32 v57, 0, v56, v29
	ds_read_u16 v68, v26 offset:216
	ds_read_u16 v65, v26 offset:336
	;; [unrolled: 1-line block ×6, first 2 shown]
	ds_read_u16 v57, v57
	ds_read_u16 v70, v26 offset:936
.LBB0_15:
	s_or_b64 exec, exec, s[2:3]
	v_add_f16_e32 v112, v53, v54
	v_fma_f16 v112, v112, -0.5, v51
	v_sub_f16_e32 v3, v3, v7
	v_fma_f16 v7, v3, s11, v112
	v_sub_f16_e32 v0, v0, v2
	v_fma_f16 v2, v0, s6, v7
	v_sub_f16_e32 v7, v52, v53
	v_sub_f16_e32 v113, v55, v54
	v_fma_f16 v112, v3, s10, v112
	v_add_f16_e32 v7, v7, v113
	v_fma_f16 v112, v0, s7, v112
	v_fma_f16 v2, v7, s12, v2
	v_fma_f16 v7, v7, s12, v112
	v_add_f16_e32 v112, v52, v55
	v_add_f16_e32 v111, v51, v52
	v_fma_f16 v51, v112, -0.5, v51
	v_fma_f16 v112, v0, s10, v51
	v_fma_f16 v0, v0, s11, v51
	;; [unrolled: 1-line block ×4, first 2 shown]
	v_add_f16_sdwa v3, v93, v6 dst_sel:DWORD dst_unused:UNUSED_PAD src0_sel:DWORD src1_sel:WORD_1
	v_add_f16_e32 v111, v111, v53
	v_sub_f16_e32 v52, v53, v52
	v_sub_f16_e32 v53, v54, v55
	v_add_f16_sdwa v3, v3, v5 dst_sel:DWORD dst_unused:UNUSED_PAD src0_sel:DWORD src1_sel:WORD_1
	v_add_f16_e32 v52, v52, v53
	v_add_f16_sdwa v3, v3, v4 dst_sel:DWORD dst_unused:UNUSED_PAD src0_sel:DWORD src1_sel:WORD_1
	s_mov_b32 s3, 0x34f23b9c
	v_mul_f16_e32 v52, 0x34f2, v52
	v_add_f16_sdwa v3, v3, v8 dst_sel:DWORD dst_unused:UNUSED_PAD src0_sel:DWORD src1_sel:WORD_1
	v_mul_f16_e32 v5, 0xb8b4, v91
	v_pack_b32_f16 v0, v0, v112
	s_mov_b32 s2, 0x34f2bb9c
	v_pk_mul_f16 v8, v62, s3
	v_fma_f16 v5, v92, s14, v5
	v_pk_add_f16 v0, v52, v0 op_sel_hi:[0,1]
	v_pk_fma_f16 v8, v61, s2, v8 op_sel:[0,0,1] op_sel_hi:[1,1,0] neg_lo:[0,0,1] neg_hi:[0,0,1]
	v_add_f16_e32 v6, v2, v5
	v_pk_add_f16 v51, v0, v8
	v_bfi_b32 v2, s13, v2, v0
	v_bfi_b32 v5, s13, v5, v8
	v_sub_f16_e32 v0, v0, v8
	v_add_f16_e32 v8, v48, v49
	v_mul_f16_e32 v52, 0x3a79, v95
	v_fma_f16 v8, v8, -0.5, v46
	v_sub_f16_e32 v12, v12, v39
	v_fma_f16 v52, v94, s6, -v52
	v_fma_f16 v39, v12, s11, v8
	v_sub_f16_e32 v9, v11, v9
	v_add_f16_e32 v53, v7, v52
	v_pk_add_f16 v2, v2, v5 neg_lo:[0,1] neg_hi:[0,1]
	v_sub_f16_e32 v5, v7, v52
	v_fma_f16 v11, v9, s6, v39
	v_sub_f16_e32 v39, v47, v48
	v_sub_f16_e32 v52, v50, v49
	v_fma_f16 v8, v12, s10, v8
	v_add_f16_e32 v39, v39, v52
	v_fma_f16 v8, v9, s7, v8
	v_fma_f16 v11, v39, s12, v11
	;; [unrolled: 1-line block ×3, first 2 shown]
	v_add_f16_e32 v39, v47, v50
	v_fma_f16 v39, v39, -0.5, v46
	v_add_f16_e32 v7, v46, v47
	v_fma_f16 v46, v9, s10, v39
	v_fma_f16 v9, v9, s11, v39
	v_add_f16_e32 v7, v7, v48
	v_fma_f16 v46, v12, s6, v46
	v_sub_f16_e32 v47, v48, v47
	v_sub_f16_e32 v48, v49, v50
	v_fma_f16 v9, v12, s7, v9
	v_add_f16_sdwa v12, v100, v13 dst_sel:DWORD dst_unused:UNUSED_PAD src0_sel:DWORD src1_sel:WORD_1
	v_add_f16_e32 v47, v47, v48
	v_add_f16_sdwa v10, v12, v10 dst_sel:DWORD dst_unused:UNUSED_PAD src0_sel:DWORD src1_sel:WORD_1
	v_add_f16_e32 v7, v7, v49
	v_mul_f16_e32 v47, 0x34f2, v47
	v_add_f16_sdwa v10, v10, v38 dst_sel:DWORD dst_unused:UNUSED_PAD src0_sel:DWORD src1_sel:WORD_1
	v_mul_f16_e32 v13, 0xb8b4, v98
	v_pack_b32_f16 v9, v9, v46
	v_pk_mul_f16 v38, v97, s3
	v_add_f16_e32 v7, v7, v50
	v_add_f16_sdwa v10, v10, v14 dst_sel:DWORD dst_unused:UNUSED_PAD src0_sel:DWORD src1_sel:WORD_1
	v_fma_f16 v13, v99, s14, v13
	v_pk_add_f16 v9, v47, v9 op_sel_hi:[0,1]
	v_pk_fma_f16 v38, v96, s2, v38 op_sel:[0,0,1] op_sel_hi:[1,1,0] neg_lo:[0,0,1] neg_hi:[0,0,1]
	v_add_f16_e32 v12, v7, v10
	v_add_f16_e32 v14, v11, v13
	v_sub_f16_e32 v7, v7, v10
	v_bfi_b32 v10, s13, v11, v9
	v_bfi_b32 v11, s13, v13, v38
	v_add_f16_e32 v13, v43, v44
	v_fma_f16 v13, v13, -0.5, v40
	v_sub_f16_e32 v31, v31, v42
	v_pk_add_f16 v39, v9, v38
	v_sub_f16_e32 v9, v9, v38
	v_fma_f16 v38, v31, s11, v13
	v_sub_f16_e32 v32, v32, v34
	v_fma_f16 v34, v32, s6, v38
	v_sub_f16_e32 v38, v41, v43
	v_sub_f16_e32 v42, v45, v44
	v_fma_f16 v13, v31, s10, v13
	v_add_f16_e32 v38, v38, v42
	v_fma_f16 v13, v32, s7, v13
	v_fma_f16 v34, v38, s12, v34
	;; [unrolled: 1-line block ×3, first 2 shown]
	v_add_f16_e32 v38, v41, v45
	v_pk_add_f16 v10, v10, v11 neg_lo:[0,1] neg_hi:[0,1]
	v_add_f16_e32 v11, v40, v41
	v_fma_f16 v38, v38, -0.5, v40
	v_add_f16_sdwa v15, v108, v15 dst_sel:DWORD dst_unused:UNUSED_PAD src0_sel:DWORD src1_sel:WORD_1
	v_add_f16_e32 v111, v111, v54
	v_add_f16_e32 v11, v11, v43
	v_fma_f16 v40, v32, s10, v38
	v_fma_f16 v32, v32, s11, v38
	v_add_f16_sdwa v15, v15, v36 dst_sel:DWORD dst_unused:UNUSED_PAD src0_sel:DWORD src1_sel:WORD_1
	v_add_f16_e32 v111, v111, v55
	v_add_f16_e32 v11, v11, v44
	v_fma_f16 v40, v31, s6, v40
	v_fma_f16 v31, v31, s7, v32
	v_add_f16_sdwa v15, v15, v37 dst_sel:DWORD dst_unused:UNUSED_PAD src0_sel:DWORD src1_sel:WORD_1
	v_mul_f16_e32 v32, 0xb8b4, v106
	v_add_f16_e32 v4, v111, v3
	v_sub_f16_e32 v3, v111, v3
	v_mul_f16_e32 v46, 0x3a79, v102
	v_add_f16_e32 v11, v11, v45
	v_sub_f16_e32 v41, v43, v41
	v_sub_f16_e32 v42, v44, v45
	v_add_f16_sdwa v15, v15, v35 dst_sel:DWORD dst_unused:UNUSED_PAD src0_sel:DWORD src1_sel:WORD_1
	v_fma_f16 v35, v107, s14, v32
	v_pk_mul_f16 v32, v104, s3
	v_fma_f16 v46, v101, s6, -v46
	v_add_f16_e32 v41, v41, v42
	v_pk_fma_f16 v36, v103, s2, v32 op_sel:[0,0,1] op_sel_hi:[1,1,0] neg_lo:[0,0,1] neg_hi:[0,0,1]
	v_pack_b32_f16 v32, v11, v34
	v_pack_b32_f16 v37, v15, v35
	v_sub_f16_e32 v42, v11, v15
	v_alignbit_b32 v11, v51, v51, 16
	v_pack_b32_f16 v4, v4, v6
	v_pack_b32_f16 v3, v53, v3
	;; [unrolled: 1-line block ×3, first 2 shown]
	v_add_f16_e32 v47, v8, v46
	v_pk_add_f16 v37, v32, v37
	v_mul_f16_e32 v32, 0x3a79, v110
	s_waitcnt lgkmcnt(0)
	; wave barrier
	s_waitcnt lgkmcnt(0)
	ds_write2_b32 v1, v4, v11 offset1:1
	ds_write2_b32 v1, v3, v2 offset0:2 offset1:3
	ds_write_b32 v1, v0 offset:16
	v_alignbit_b32 v0, v39, v39, 16
	v_pack_b32_f16 v1, v12, v14
	v_sub_f16_e32 v8, v8, v46
	v_mul_f16_e32 v41, 0x34f2, v41
	v_pack_b32_f16 v31, v31, v40
	v_fma_f16 v40, v109, s6, -v32
	ds_write2_b32 v90, v1, v0 offset1:1
	v_pack_b32_f16 v0, v47, v7
	v_pk_add_f16 v31, v41, v31 op_sel_hi:[0,1]
	v_add_f16_e32 v32, v13, v40
	ds_write2_b32 v90, v0, v10 offset0:2 offset1:3
	v_pack_b32_f16 v0, v9, v8
	v_pk_add_f16 v38, v31, v36 op_sel:[1,1] op_sel_hi:[0,0]
	v_sub_f16_e32 v41, v34, v35
	v_pk_add_f16 v35, v31, v36 neg_lo:[0,1] neg_hi:[0,1]
	v_sub_f16_e32 v40, v13, v40
	ds_write_b32 v90, v0 offset:16
	ds_write2_b32 v105, v37, v38 offset1:1
	v_pack_b32_f16 v0, v32, v42
	ds_write_b32 v105, v0 offset:8
	v_bfi_b32 v0, s13, v41, v35
	v_pack_b32_f16 v1, v35, v40
	ds_write2_b32 v105, v0, v1 offset0:3 offset1:4
	s_waitcnt lgkmcnt(0)
	; wave barrier
	s_waitcnt lgkmcnt(0)
	ds_read_u16 v34, v27
	ds_read_u16 v91, v26 offset:120
	ds_read_u16 v47, v26 offset:152
	;; [unrolled: 1-line block ×8, first 2 shown]
	ds_read_u16 v31, v30
	ds_read_u16 v93, v26 offset:360
	ds_read_u16 v48, v26 offset:304
	;; [unrolled: 1-line block ×10, first 2 shown]
	ds_read_u16 v36, v28
	ds_read_u16 v45, v26 offset:904
	ds_read_u16 v96, v26 offset:840
	;; [unrolled: 1-line block ×3, first 2 shown]
                                        ; implicit-def: $vgpr44
                                        ; implicit-def: $vgpr43
	s_and_saveexec_b64 s[2:3], s[0:1]
	s_cbranch_execz .LBB0_17
; %bb.16:
	v_add3_u32 v0, 0, v56, v29
	ds_read_u16 v42, v26 offset:216
	ds_read_u16 v41, v26 offset:336
	;; [unrolled: 1-line block ×6, first 2 shown]
	ds_read_u16 v32, v0
	ds_read_u16 v43, v26 offset:936
	s_mov_b32 s6, 0x5040100
	s_waitcnt lgkmcnt(4)
	v_perm_b32 v35, v1, v2, s6
.LBB0_17:
	s_or_b64 exec, exec, s[2:3]
	v_add_u32_e32 v0, -10, v18
	v_cmp_gt_u32_e64 s[2:3], 10, v18
	v_mov_b32_e32 v1, 0
	s_nop 0
	v_cndmask_b32_e64 v97, v0, v18, s[2:3]
	v_mul_i32_i24_e32 v0, 7, v97
	v_lshl_add_u64 v[0:1], v[0:1], 2, s[4:5]
	s_movk_i32 s2, 0xcd
	global_load_dwordx4 v[4:7], v[0:1], off
	global_load_dwordx3 v[98:100], v[0:1], off offset:16
	v_mul_lo_u16_sdwa v1, v23, s2 dst_sel:DWORD dst_unused:UNUSED_PAD src0_sel:BYTE_0 src1_sel:DWORD
	v_lshrrev_b16_e32 v101, 11, v1
	v_mul_lo_u16_e32 v1, 10, v101
	v_sub_u16_e32 v105, v23, v1
	v_mov_b32_e32 v0, 2
	v_mul_lo_u16_e32 v1, 7, v105
	v_mul_lo_u16_sdwa v2, v24, s2 dst_sel:DWORD dst_unused:UNUSED_PAD src0_sel:BYTE_0 src1_sel:DWORD
	v_lshlrev_b32_sdwa v0, v0, v1 dst_sel:DWORD dst_unused:UNUSED_PAD src0_sel:DWORD src1_sel:BYTE_0
	v_lshrrev_b16_e32 v109, 11, v2
	global_load_dwordx4 v[8:11], v0, s[4:5]
	global_load_dwordx3 v[102:104], v0, s[4:5] offset:16
	v_mul_lo_u16_e32 v0, 10, v109
	v_mov_b32_e32 v1, 7
	v_sub_u16_e32 v113, v24, v0
	v_mul_u32_u24_sdwa v0, v113, v1 dst_sel:DWORD dst_unused:UNUSED_PAD src0_sel:BYTE_0 src1_sel:DWORD
	v_lshlrev_b32_e32 v0, 2, v0
	global_load_dwordx4 v[12:15], v0, s[4:5]
	global_load_dwordx3 v[106:108], v0, s[4:5] offset:16
	v_mul_lo_u16_sdwa v0, v25, s2 dst_sel:DWORD dst_unused:UNUSED_PAD src0_sel:BYTE_0 src1_sel:DWORD
	v_lshrrev_b16_e32 v49, 11, v0
	v_mul_lo_u16_e32 v0, 10, v49
	v_sub_u16_e32 v50, v25, v0
	v_mul_u32_u24_sdwa v0, v50, v1 dst_sel:DWORD dst_unused:UNUSED_PAD src0_sel:BYTE_0 src1_sel:DWORD
	v_lshlrev_b32_e32 v114, 2, v0
	global_load_dwordx4 v[0:3], v114, s[4:5]
	global_load_dwordx3 v[110:112], v114, s[4:5] offset:16
	s_mov_b32 s3, 0xb9a8
	s_movk_i32 s2, 0x39a8
	s_waitcnt lgkmcnt(0)
	; wave barrier
	s_waitcnt vmcnt(7) lgkmcnt(0)
	v_mul_f16_sdwa v114, v91, v4 dst_sel:DWORD dst_unused:UNUSED_PAD src0_sel:DWORD src1_sel:WORD_1
	v_mul_f16_sdwa v115, v85, v4 dst_sel:DWORD dst_unused:UNUSED_PAD src0_sel:DWORD src1_sel:WORD_1
	;; [unrolled: 1-line block ×6, first 2 shown]
	v_fma_f16 v85, v85, v4, -v114
	v_fma_f16 v91, v91, v4, v115
	v_fma_f16 v87, v87, v5, -v116
	v_fma_f16 v4, v94, v5, v117
	s_waitcnt vmcnt(6)
	v_mul_f16_sdwa v121, v95, v98 dst_sel:DWORD dst_unused:UNUSED_PAD src0_sel:DWORD src1_sel:WORD_1
	s_waitcnt vmcnt(5)
	v_mul_f16_sdwa v5, v47, v8 dst_sel:DWORD dst_unused:UNUSED_PAD src0_sel:DWORD src1_sel:WORD_1
	v_mul_f16_sdwa v122, v88, v98 dst_sel:DWORD dst_unused:UNUSED_PAD src0_sel:DWORD src1_sel:WORD_1
	v_fma_f16 v86, v86, v6, -v118
	v_fma_f16 v93, v93, v6, v119
	v_mul_f16_sdwa v6, v80, v8 dst_sel:DWORD dst_unused:UNUSED_PAD src0_sel:DWORD src1_sel:WORD_1
	v_fma_f16 v80, v80, v8, -v5
	s_waitcnt vmcnt(3)
	v_mul_f16_sdwa v5, v78, v12 dst_sel:DWORD dst_unused:UNUSED_PAD src0_sel:DWORD src1_sel:WORD_1
	v_mul_f16_sdwa v123, v92, v99 dst_sel:DWORD dst_unused:UNUSED_PAD src0_sel:DWORD src1_sel:WORD_1
	;; [unrolled: 1-line block ×3, first 2 shown]
	v_fma_f16 v88, v88, v98, -v121
	v_fma_f16 v95, v95, v98, v122
	v_mul_f16_sdwa v98, v55, v9 dst_sel:DWORD dst_unused:UNUSED_PAD src0_sel:DWORD src1_sel:WORD_1
	v_mul_f16_sdwa v122, v61, v12 dst_sel:DWORD dst_unused:UNUSED_PAD src0_sel:DWORD src1_sel:WORD_1
	v_fma_f16 v47, v47, v8, v6
	v_fma_f16 v61, v61, v12, v5
	v_mul_f16_sdwa v5, v48, v13 dst_sel:DWORD dst_unused:UNUSED_PAD src0_sel:DWORD src1_sel:WORD_1
	v_mul_f16_sdwa v8, v62, v14 dst_sel:DWORD dst_unused:UNUSED_PAD src0_sel:DWORD src1_sel:WORD_1
	v_fma_f16 v84, v84, v99, -v123
	v_fma_f16 v92, v92, v99, v124
	v_mul_f16_sdwa v99, v81, v9 dst_sel:DWORD dst_unused:UNUSED_PAD src0_sel:DWORD src1_sel:WORD_1
	v_fma_f16 v81, v81, v9, -v98
	v_fma_f16 v98, v78, v12, -v122
	v_fma_f16 v78, v74, v13, -v5
	v_mul_f16_sdwa v5, v74, v13 dst_sel:DWORD dst_unused:UNUSED_PAD src0_sel:DWORD src1_sel:WORD_1
	v_fma_f16 v74, v79, v14, -v8
	v_mul_f16_sdwa v8, v79, v14 dst_sel:DWORD dst_unused:UNUSED_PAD src0_sel:DWORD src1_sel:WORD_1
	v_fma_f16 v62, v62, v14, v8
	v_mul_f16_sdwa v8, v38, v15 dst_sel:DWORD dst_unused:UNUSED_PAD src0_sel:DWORD src1_sel:WORD_1
	v_mul_f16_sdwa v125, v96, v100 dst_sel:DWORD dst_unused:UNUSED_PAD src0_sel:DWORD src1_sel:WORD_1
	;; [unrolled: 1-line block ×3, first 2 shown]
	v_fma_f16 v79, v58, v15, -v8
	s_waitcnt vmcnt(2)
	v_mul_f16_sdwa v8, v46, v106 dst_sel:DWORD dst_unused:UNUSED_PAD src0_sel:DWORD src1_sel:WORD_1
	v_fma_f16 v89, v89, v100, -v125
	v_fma_f16 v96, v96, v100, v126
	v_mul_f16_sdwa v100, v54, v10 dst_sel:DWORD dst_unused:UNUSED_PAD src0_sel:DWORD src1_sel:WORD_1
	v_fma_f16 v6, v55, v9, v99
	v_fma_f16 v99, v71, v106, -v8
	v_mul_f16_sdwa v8, v71, v106 dst_sel:DWORD dst_unused:UNUSED_PAD src0_sel:DWORD src1_sel:WORD_1
	v_fma_f16 v55, v77, v10, -v100
	v_fma_f16 v100, v46, v106, v8
	v_mul_f16_sdwa v8, v51, v107 dst_sel:DWORD dst_unused:UNUSED_PAD src0_sel:DWORD src1_sel:WORD_1
	v_fma_f16 v71, v75, v107, -v8
	v_mul_f16_sdwa v8, v75, v107 dst_sel:DWORD dst_unused:UNUSED_PAD src0_sel:DWORD src1_sel:WORD_1
	v_mul_f16_sdwa v116, v90, v102 dst_sel:DWORD dst_unused:UNUSED_PAD src0_sel:DWORD src1_sel:WORD_1
	v_mul_f16_sdwa v117, v82, v102 dst_sel:DWORD dst_unused:UNUSED_PAD src0_sel:DWORD src1_sel:WORD_1
	v_fma_f16 v75, v51, v107, v8
	v_mul_f16_sdwa v8, v45, v108 dst_sel:DWORD dst_unused:UNUSED_PAD src0_sel:DWORD src1_sel:WORD_1
	v_fma_f16 v82, v82, v102, -v116
	v_fma_f16 v90, v90, v102, v117
	v_fma_f16 v102, v73, v108, -v8
	v_mul_f16_sdwa v8, v73, v108 dst_sel:DWORD dst_unused:UNUSED_PAD src0_sel:DWORD src1_sel:WORD_1
	v_mul_f16_sdwa v118, v53, v103 dst_sel:DWORD dst_unused:UNUSED_PAD src0_sel:DWORD src1_sel:WORD_1
	;; [unrolled: 1-line block ×3, first 2 shown]
	v_fma_f16 v73, v45, v108, v8
	s_waitcnt vmcnt(1)
	v_mul_f16_sdwa v8, v42, v0 dst_sel:DWORD dst_unused:UNUSED_PAD src0_sel:DWORD src1_sel:WORD_1
	v_fma_f16 v76, v76, v103, -v118
	v_fma_f16 v53, v53, v103, v119
	v_fma_f16 v103, v68, v0, -v8
	v_mul_f16_sdwa v8, v68, v0 dst_sel:DWORD dst_unused:UNUSED_PAD src0_sel:DWORD src1_sel:WORD_1
	v_fma_f16 v68, v42, v0, v8
	v_mul_f16_sdwa v0, v41, v1 dst_sel:DWORD dst_unused:UNUSED_PAD src0_sel:DWORD src1_sel:WORD_1
	v_fma_f16 v14, v65, v1, -v0
	v_mul_f16_sdwa v0, v65, v1 dst_sel:DWORD dst_unused:UNUSED_PAD src0_sel:DWORD src1_sel:WORD_1
	v_fma_f16 v0, v41, v1, v0
	v_lshrrev_b32_e32 v1, 16, v35
	v_mul_f16_sdwa v8, v1, v2 dst_sel:DWORD dst_unused:UNUSED_PAD src0_sel:DWORD src1_sel:WORD_1
	v_mul_f16_sdwa v120, v39, v7 dst_sel:DWORD dst_unused:UNUSED_PAD src0_sel:DWORD src1_sel:WORD_1
	v_fma_f16 v65, v64, v2, -v8
	v_mul_f16_sdwa v8, v64, v2 dst_sel:DWORD dst_unused:UNUSED_PAD src0_sel:DWORD src1_sel:WORD_1
	v_fma_f16 v94, v60, v7, -v120
	v_mul_f16_sdwa v120, v52, v104 dst_sel:DWORD dst_unused:UNUSED_PAD src0_sel:DWORD src1_sel:WORD_1
	v_mul_f16_sdwa v121, v83, v104 dst_sel:DWORD dst_unused:UNUSED_PAD src0_sel:DWORD src1_sel:WORD_1
	v_fma_f16 v2, v1, v2, v8
	s_waitcnt vmcnt(0)
	v_mul_f16_sdwa v8, v72, v111 dst_sel:DWORD dst_unused:UNUSED_PAD src0_sel:DWORD src1_sel:WORD_1
	v_fma_f16 v83, v83, v104, -v120
	v_fma_f16 v52, v52, v104, v121
	v_mul_f16_sdwa v1, v40, v110 dst_sel:DWORD dst_unused:UNUSED_PAD src0_sel:DWORD src1_sel:WORD_1
	v_fma_f16 v104, v44, v111, v8
	v_mul_f16_sdwa v8, v43, v112 dst_sel:DWORD dst_unused:UNUSED_PAD src0_sel:DWORD src1_sel:WORD_1
	v_fma_f16 v64, v66, v110, -v1
	v_mul_f16_sdwa v1, v66, v110 dst_sel:DWORD dst_unused:UNUSED_PAD src0_sel:DWORD src1_sel:WORD_1
	v_fma_f16 v106, v70, v112, -v8
	v_mul_f16_sdwa v8, v70, v112 dst_sel:DWORD dst_unused:UNUSED_PAD src0_sel:DWORD src1_sel:WORD_1
	v_fma_f16 v66, v40, v110, v1
	v_mul_f16_sdwa v1, v44, v111 dst_sel:DWORD dst_unused:UNUSED_PAD src0_sel:DWORD src1_sel:WORD_1
	v_fma_f16 v70, v43, v112, v8
	v_sub_f16_e32 v12, v69, v94
	v_sub_f16_e32 v8, v87, v84
	;; [unrolled: 1-line block ×5, first 2 shown]
	v_fma_f16 v5, v48, v13, v5
	v_fma_f16 v13, v69, 2.0, -v12
	v_fma_f16 v40, v87, 2.0, -v8
	;; [unrolled: 1-line block ×3, first 2 shown]
	v_sub_f16_e32 v45, v93, v96
	v_fma_f16 v46, v86, 2.0, -v44
	v_sub_f16_e32 v69, v12, v9
	v_mul_f16_sdwa v114, v77, v10 dst_sel:DWORD dst_unused:UNUSED_PAD src0_sel:DWORD src1_sel:WORD_1
	v_fma_f16 v1, v72, v111, -v1
	v_sub_f16_e32 v42, v91, v95
	v_fma_f16 v48, v93, 2.0, -v45
	v_sub_f16_e32 v51, v13, v40
	v_fma_f16 v72, v12, 2.0, -v69
	v_sub_f16_e32 v12, v43, v46
	v_sub_f16_e32 v45, v41, v45
	v_mul_f16_sdwa v115, v37, v11 dst_sel:DWORD dst_unused:UNUSED_PAD src0_sel:DWORD src1_sel:WORD_1
	v_fma_f16 v54, v54, v10, v114
	v_fma_f16 v10, v91, 2.0, -v42
	v_fma_f16 v40, v13, 2.0, -v51
	;; [unrolled: 1-line block ×3, first 2 shown]
	v_add_f16_e32 v46, v42, v44
	v_fma_f16 v44, v41, 2.0, -v45
	v_fma_f16 v77, v59, v11, -v115
	v_sub_f16_e32 v13, v10, v48
	v_fma_f16 v42, v42, 2.0, -v46
	v_sub_f16_e32 v84, v40, v43
	v_fma_f16 v43, v44, s3, v72
	v_fma_f16 v86, v42, s3, v43
	v_sub_f16_e32 v88, v51, v13
	v_sub_f16_e32 v48, v67, v77
	v_fma_f16 v87, v72, 2.0, -v86
	v_fma_f16 v89, v51, 2.0, -v88
	v_fma_f16 v43, v45, s2, v69
	v_fma_f16 v51, v67, 2.0, -v48
	v_sub_f16_e32 v67, v80, v82
	v_sub_f16_e32 v72, v47, v90
	;; [unrolled: 1-line block ×3, first 2 shown]
	v_fma_f16 v85, v40, 2.0, -v84
	v_mul_f16_e32 v40, 0x39a8, v44
	v_mul_f16_e32 v41, 0x39a8, v42
	;; [unrolled: 1-line block ×4, first 2 shown]
	v_fma_f16 v91, v46, s3, v43
	v_sub_f16_e32 v43, v81, v76
	v_sub_f16_e32 v45, v6, v53
	v_fma_f16 v76, v80, 2.0, -v67
	v_fma_f16 v46, v47, 2.0, -v72
	v_sub_f16_e32 v52, v54, v52
	v_fma_f16 v47, v55, 2.0, -v77
	v_fma_f16 v53, v81, 2.0, -v43
	;; [unrolled: 1-line block ×3, first 2 shown]
	v_sub_f16_e32 v80, v48, v45
	v_sub_f16_e32 v47, v76, v47
	;; [unrolled: 1-line block ×3, first 2 shown]
	v_fma_f16 v55, v48, 2.0, -v80
	v_sub_f16_e32 v48, v46, v54
	v_fma_f16 v54, v76, 2.0, -v47
	v_sub_f16_e32 v76, v67, v52
	v_fma_f16 v51, v51, 2.0, -v53
	v_add_f16_e32 v77, v72, v77
	v_fma_f16 v67, v67, 2.0, -v76
	v_fma_f16 v72, v72, 2.0, -v77
	v_sub_f16_e32 v81, v51, v54
	v_fma_f16 v54, v67, s3, v55
	v_fma_f16 v83, v72, s3, v54
	;; [unrolled: 1-line block ×3, first 2 shown]
	v_fma_f16 v90, v55, 2.0, -v83
	v_sub_f16_e32 v92, v53, v48
	v_mul_f16_e32 v55, 0x39a8, v77
	v_fma_f16 v94, v77, s3, v54
	v_sub_f16_e32 v77, v61, v100
	v_fma_f16 v82, v51, 2.0, -v81
	v_mul_f16_e32 v51, 0x39a8, v67
	v_mul_f16_e32 v52, 0x39a8, v72
	v_fma_f16 v93, v53, 2.0, -v92
	v_mul_f16_e32 v53, 0x39a8, v76
	v_sub_f16_e32 v67, v63, v79
	v_sub_f16_e32 v54, v78, v71
	;; [unrolled: 1-line block ×3, first 2 shown]
	v_fma_f16 v72, v61, 2.0, -v77
	v_sub_f16_e32 v61, v74, v102
	v_fma_f16 v63, v63, 2.0, -v67
	v_sub_f16_e32 v71, v5, v75
	v_fma_f16 v75, v78, 2.0, -v54
	v_fma_f16 v78, v98, 2.0, -v76
	v_sub_f16_e32 v79, v62, v73
	v_fma_f16 v73, v74, 2.0, -v61
	v_fma_f16 v62, v62, 2.0, -v79
	v_sub_f16_e32 v95, v63, v75
	v_sub_f16_e32 v96, v67, v71
	v_sub_f16_e32 v73, v78, v73
	v_sub_f16_e32 v79, v76, v79
	v_fma_f16 v63, v63, 2.0, -v95
	v_fma_f16 v67, v67, 2.0, -v96
	v_sub_f16_e32 v74, v72, v62
	v_fma_f16 v62, v78, 2.0, -v73
	v_add_f16_e32 v61, v77, v61
	v_fma_f16 v78, v76, 2.0, -v79
	v_fma_f16 v77, v77, 2.0, -v61
	v_sub_f16_e32 v98, v63, v62
	v_fma_f16 v62, v78, s3, v67
	v_fma_f16 v100, v77, s3, v62
	;; [unrolled: 1-line block ×3, first 2 shown]
	v_sub_f16_e32 v66, v68, v66
	v_fma_f16 v99, v63, 2.0, -v98
	v_mul_f16_e32 v75, 0x39a8, v78
	v_fma_f16 v102, v67, 2.0, -v100
	v_mul_f16_e32 v78, 0x39a8, v61
	v_fma_f16 v108, v61, s3, v62
	v_sub_f16_e32 v63, v103, v64
	v_fma_f16 v61, v68, 2.0, -v66
	v_sub_f16_e32 v67, v65, v106
	v_sub_f16_e32 v68, v2, v70
	v_mul_f16_e32 v76, 0x39a8, v77
	v_mul_f16_e32 v77, 0x39a8, v79
	v_fma_f16 v79, v103, 2.0, -v63
	v_fma_f16 v64, v65, 2.0, -v67
	;; [unrolled: 1-line block ×3, first 2 shown]
	v_sub_f16_e32 v2, v79, v64
	v_sub_f16_e32 v64, v61, v65
	;; [unrolled: 1-line block ×3, first 2 shown]
	v_add_f16_e32 v68, v66, v67
	v_fma_f16 v63, v63, 2.0, -v65
	v_fma_f16 v67, v66, 2.0, -v68
	v_mul_f16_e32 v66, 0x39a8, v63
	v_mul_f16_e32 v63, 0x39a8, v65
	;; [unrolled: 1-line block ×3, first 2 shown]
	v_mov_b32_e32 v68, 0x50
	v_cmp_lt_u32_e64 s[2:3], 9, v18
	v_fma_f16 v69, v69, 2.0, -v91
	v_mov_b32_e32 v70, 1
	v_cndmask_b32_e64 v68, 0, v68, s[2:3]
	v_or_b32_e32 v68, v68, v97
	v_lshlrev_b32_e32 v68, 1, v68
	v_add3_u32 v68, 0, v68, v29
	ds_write_b16 v68, v85
	ds_write_b16 v68, v87 offset:20
	ds_write_b16 v68, v89 offset:40
	;; [unrolled: 1-line block ×7, first 2 shown]
	v_mul_lo_u16_e32 v69, 0x50, v101
	v_or_b32_e32 v69, v69, v105
	v_lshlrev_b32_sdwa v69, v70, v69 dst_sel:DWORD dst_unused:UNUSED_PAD src0_sel:DWORD src1_sel:BYTE_0
	v_mul_u32_u24_e32 v70, 0x50, v109
	v_or_b32_sdwa v70, v70, v113 dst_sel:DWORD dst_unused:UNUSED_PAD src0_sel:DWORD src1_sel:BYTE_0
	v_lshlrev_b32_e32 v70, 1, v70
	v_sub_f16_e32 v107, v95, v74
	v_sub_f16_e32 v1, v14, v1
	;; [unrolled: 1-line block ×3, first 2 shown]
	v_mul_f16_e32 v67, 0x39a8, v67
	v_add3_u32 v69, 0, v69, v29
	v_add3_u32 v70, 0, v70, v29
	v_fma_f16 v80, v80, 2.0, -v94
	v_fma_f16 v95, v95, 2.0, -v107
	;; [unrolled: 1-line block ×3, first 2 shown]
	ds_write_b16 v69, v82
	ds_write_b16 v69, v90 offset:20
	ds_write_b16 v69, v93 offset:40
	;; [unrolled: 1-line block ×7, first 2 shown]
	ds_write_b16 v70, v99
	ds_write_b16 v70, v102 offset:20
	ds_write_b16 v70, v95 offset:40
	;; [unrolled: 1-line block ×7, first 2 shown]
	s_and_saveexec_b64 s[2:3], s[0:1]
	s_cbranch_execz .LBB0_19
; %bb.18:
	v_mul_f16_sdwa v80, v35, v3 dst_sel:DWORD dst_unused:UNUSED_PAD src0_sel:DWORD src1_sel:WORD_1
	v_fma_f16 v80, v33, v3, -v80
	v_sub_f16_e32 v80, v57, v80
	v_sub_f16_e32 v81, v80, v62
	v_fma_f16 v57, v57, 2.0, -v80
	v_fma_f16 v14, v14, 2.0, -v1
	v_add_f16_e32 v82, v81, v63
	v_sub_f16_e32 v14, v57, v14
	v_mul_u32_u24_e32 v85, 0x50, v49
	v_sub_f16_e32 v82, v82, v65
	v_fma_f16 v80, v80, 2.0, -v81
	v_fma_f16 v57, v57, 2.0, -v14
	;; [unrolled: 1-line block ×3, first 2 shown]
	v_or_b32_sdwa v85, v85, v50 dst_sel:DWORD dst_unused:UNUSED_PAD src0_sel:DWORD src1_sel:BYTE_0
	v_fma_f16 v83, v81, 2.0, -v82
	v_sub_f16_e32 v81, v80, v66
	v_sub_f16_e32 v79, v57, v79
	v_lshlrev_b32_e32 v85, 1, v85
	v_sub_f16_e32 v84, v14, v64
	v_sub_f16_e32 v81, v81, v67
	v_fma_f16 v57, v57, 2.0, -v79
	v_add3_u32 v85, 0, v85, v29
	v_fma_f16 v80, v80, 2.0, -v81
	v_fma_f16 v14, v14, 2.0, -v84
	ds_write_b16 v85, v57
	ds_write_b16 v85, v80 offset:20
	ds_write_b16 v85, v14 offset:40
	;; [unrolled: 1-line block ×7, first 2 shown]
.LBB0_19:
	s_or_b64 exec, exec, s[2:3]
	v_mul_f16_sdwa v14, v60, v7 dst_sel:DWORD dst_unused:UNUSED_PAD src0_sel:DWORD src1_sel:WORD_1
	v_fma_f16 v7, v39, v7, v14
	v_mul_f16_sdwa v14, v59, v11 dst_sel:DWORD dst_unused:UNUSED_PAD src0_sel:DWORD src1_sel:WORD_1
	v_fma_f16 v11, v37, v11, v14
	v_mul_f16_sdwa v14, v58, v15 dst_sel:DWORD dst_unused:UNUSED_PAD src0_sel:DWORD src1_sel:WORD_1
	v_sub_f16_e32 v7, v34, v7
	v_fma_f16 v14, v38, v15, v14
	v_fma_f16 v15, v34, 2.0, -v7
	v_fma_f16 v4, v4, 2.0, -v9
	v_sub_f16_e32 v4, v15, v4
	v_fma_f16 v9, v15, 2.0, -v4
	v_add_f16_e32 v8, v7, v8
	v_fma_f16 v10, v10, 2.0, -v13
	v_fma_f16 v7, v7, 2.0, -v8
	v_sub_f16_e32 v57, v9, v10
	v_fma_f16 v58, v9, 2.0, -v57
	v_sub_f16_e32 v9, v7, v41
	v_add_f16_e32 v59, v40, v9
	v_fma_f16 v60, v7, 2.0, -v59
	v_add_f16_e32 v7, v8, v44
	v_add_f16_e32 v80, v42, v7
	v_sub_f16_e32 v7, v36, v11
	v_fma_f16 v81, v8, 2.0, -v80
	v_fma_f16 v8, v36, 2.0, -v7
	v_fma_f16 v6, v6, 2.0, -v45
	v_sub_f16_e32 v6, v8, v6
	v_fma_f16 v8, v8, 2.0, -v6
	v_add_f16_e32 v9, v7, v43
	v_fma_f16 v10, v46, 2.0, -v48
	v_fma_f16 v7, v7, 2.0, -v9
	v_sub_f16_e32 v82, v8, v10
	v_add_f16_e32 v86, v6, v47
	v_fma_f16 v83, v8, 2.0, -v82
	v_sub_f16_e32 v8, v7, v52
	v_fma_f16 v87, v6, 2.0, -v86
	v_add_f16_e32 v6, v9, v55
	v_add_f16_e32 v84, v51, v8
	;; [unrolled: 1-line block ×3, first 2 shown]
	v_sub_f16_e32 v6, v31, v14
	v_fma_f16 v85, v7, 2.0, -v84
	v_fma_f16 v7, v31, 2.0, -v6
	v_fma_f16 v5, v5, 2.0, -v71
	v_sub_f16_e32 v5, v7, v5
	v_fma_f16 v89, v9, 2.0, -v88
	v_fma_f16 v7, v7, 2.0, -v5
	v_add_f16_e32 v8, v6, v54
	v_fma_f16 v9, v72, 2.0, -v74
	v_fma_f16 v6, v6, 2.0, -v8
	v_sub_f16_e32 v71, v7, v9
	v_fma_f16 v72, v7, 2.0, -v71
	v_sub_f16_e32 v7, v6, v76
	v_add_f16_e32 v74, v75, v7
	v_fma_f16 v75, v6, 2.0, -v74
	v_add_f16_e32 v6, v8, v78
	v_add_f16_e32 v76, v77, v6
	;; [unrolled: 1-line block ×3, first 2 shown]
	v_fma_f16 v77, v8, 2.0, -v76
	s_waitcnt lgkmcnt(0)
	; wave barrier
	s_waitcnt lgkmcnt(0)
	ds_read_u16 v12, v26 offset:832
	v_add3_u32 v56, 0, v56, v29
	ds_read_u16 v36, v30
	ds_read_u16 v42, v56
	;; [unrolled: 1-line block ×3, first 2 shown]
	ds_read_u16 v48, v26 offset:128
	ds_read_u16 v7, v26 offset:160
	;; [unrolled: 1-line block ×24, first 2 shown]
	ds_read_u16 v13, v28
	ds_read_u16 v55, v26 offset:928
	v_add_f16_e32 v73, v5, v73
	v_fma_f16 v4, v4, 2.0, -v79
	v_fma_f16 v5, v5, 2.0, -v73
	s_waitcnt lgkmcnt(0)
	; wave barrier
	s_waitcnt lgkmcnt(0)
	ds_write_b16 v68, v58
	ds_write_b16 v68, v60 offset:20
	ds_write_b16 v68, v4 offset:40
	ds_write_b16 v68, v81 offset:60
	ds_write_b16 v68, v57 offset:80
	ds_write_b16 v68, v59 offset:100
	ds_write_b16 v68, v79 offset:120
	ds_write_b16 v68, v80 offset:140
	ds_write_b16 v69, v83
	ds_write_b16 v69, v85 offset:20
	ds_write_b16 v69, v87 offset:40
	ds_write_b16 v69, v89 offset:60
	ds_write_b16 v69, v82 offset:80
	ds_write_b16 v69, v84 offset:100
	ds_write_b16 v69, v86 offset:120
	ds_write_b16 v69, v88 offset:140
	;; [unrolled: 8-line block ×3, first 2 shown]
	s_and_saveexec_b64 s[2:3], s[0:1]
	s_cbranch_execz .LBB0_21
; %bb.20:
	v_mul_f16_sdwa v4, v33, v3 dst_sel:DWORD dst_unused:UNUSED_PAD src0_sel:DWORD src1_sel:WORD_1
	v_fma_f16 v3, v35, v3, v4
	v_sub_f16_e32 v3, v32, v3
	v_fma_f16 v4, v32, 2.0, -v3
	v_fma_f16 v0, v0, 2.0, -v62
	v_sub_f16_e32 v0, v4, v0
	v_add_f16_e32 v1, v3, v1
	v_mul_u32_u24_e32 v35, 0x50, v49
	v_fma_f16 v4, v4, 2.0, -v0
	v_fma_f16 v3, v3, 2.0, -v1
	;; [unrolled: 1-line block ×3, first 2 shown]
	v_or_b32_sdwa v35, v35, v50 dst_sel:DWORD dst_unused:UNUSED_PAD src0_sel:DWORD src1_sel:BYTE_0
	v_sub_f16_e32 v5, v4, v5
	v_sub_f16_e32 v32, v3, v67
	v_add_f16_e32 v33, v1, v65
	v_lshlrev_b32_e32 v35, 1, v35
	v_fma_f16 v4, v4, 2.0, -v5
	v_add_f16_e32 v32, v66, v32
	v_add_f16_e32 v2, v0, v2
	;; [unrolled: 1-line block ×3, first 2 shown]
	v_add3_u32 v29, 0, v35, v29
	v_fma_f16 v3, v3, 2.0, -v32
	v_fma_f16 v0, v0, 2.0, -v2
	;; [unrolled: 1-line block ×3, first 2 shown]
	ds_write_b16 v29, v4
	ds_write_b16 v29, v3 offset:20
	ds_write_b16 v29, v0 offset:40
	;; [unrolled: 1-line block ×7, first 2 shown]
.LBB0_21:
	s_or_b64 exec, exec, s[2:3]
	s_waitcnt lgkmcnt(0)
	; wave barrier
	s_waitcnt lgkmcnt(0)
	s_and_saveexec_b64 s[0:1], vcc
	s_cbranch_execz .LBB0_23
; %bb.22:
	v_mul_u32_u24_e32 v0, 5, v20
	v_lshlrev_b32_e32 v4, 2, v0
	global_load_dwordx4 v[0:3], v4, s[4:5] offset:280
	global_load_dword v35, v4, s[4:5] offset:296
	v_mul_i32_i24_e32 v4, 5, v25
	v_mov_b32_e32 v5, 0
	v_lshl_add_u64 v[32:33], v[4:5], 2, s[4:5]
	ds_read_u16 v29, v26 offset:160
	ds_read_u16 v49, v26 offset:608
	ds_read_u16 v60, v56
	ds_read_u16 v61, v30
	;; [unrolled: 1-line block ×3, first 2 shown]
	ds_read_u16 v25, v26 offset:928
	ds_read_u16 v63, v26 offset:896
	;; [unrolled: 1-line block ×15, first 2 shown]
	ds_read_u16 v74, v27
	ds_read_u16 v75, v26 offset:576
	ds_read_u16 v76, v26 offset:544
	;; [unrolled: 1-line block ×4, first 2 shown]
	global_load_dwordx4 v[56:59], v[32:33], off offset:280
	global_load_dword v79, v[32:33], off offset:296
	ds_read_u16 v27, v26 offset:448
	ds_read_u16 v81, v26 offset:416
	s_movk_i32 s0, 0x3aee
	s_mov_b32 s1, 0xbaee
	s_waitcnt vmcnt(3)
	v_lshrrev_b32_e32 v32, 16, v1
	v_lshrrev_b32_e32 v33, 16, v2
	;; [unrolled: 1-line block ×3, first 2 shown]
	s_waitcnt lgkmcnt(1)
	v_mul_f16_e32 v82, v1, v27
	v_mul_f16_e32 v83, v3, v30
	s_waitcnt vmcnt(2)
	v_lshrrev_b32_e32 v84, 16, v35
	v_mul_f16_e32 v85, v2, v49
	v_mul_f16_e32 v86, v35, v25
	v_lshrrev_b32_e32 v4, 16, v0
	v_mul_f16_e32 v87, v0, v28
	v_mul_f16_e32 v27, v32, v27
	v_mul_f16_e32 v30, v80, v30
	v_fma_f16 v32, v52, v32, v82
	v_fma_f16 v80, v54, v80, v83
	v_mul_f16_e32 v49, v33, v49
	v_mul_f16_e32 v25, v84, v25
	v_fma_f16 v33, v53, v33, v85
	v_fma_f16 v82, v55, v84, v86
	v_mul_f16_e32 v28, v4, v28
	v_fma_f16 v4, v51, v4, v87
	v_fma_f16 v27, v52, v1, -v27
	v_add_f16_e32 v1, v32, v80
	v_fma_f16 v49, v53, v2, -v49
	v_fma_f16 v35, v55, v35, -v25
	v_add_f16_e32 v2, v33, v82
	v_fma_f16 v30, v54, v3, -v30
	v_fma_f16 v28, v51, v0, -v28
	v_add_f16_e32 v3, v32, v50
	v_fma_f16 v1, v1, -0.5, v50
	v_add_f16_e32 v50, v49, v35
	v_sub_f16_e32 v51, v49, v35
	v_fma_f16 v2, v2, -0.5, v4
	v_sub_f16_e32 v0, v33, v82
	v_add_f16_e32 v25, v4, v33
	v_sub_f16_e32 v33, v27, v30
	v_fma_f16 v50, v50, -0.5, v28
	v_fma_f16 v54, v51, s0, v2
	v_fma_f16 v53, v33, s0, v1
	;; [unrolled: 1-line block ×5, first 2 shown]
	v_mul_f16_e32 v2, -0.5, v54
	v_fma_f16 v50, v0, s0, v50
	v_add_f16_e32 v52, v25, v82
	v_add_f16_e32 v25, v27, v30
	v_fma_f16 v55, v1, s1, v2
	v_mul_f16_e32 v2, 0xbaee, v50
	v_add_f16_e32 v4, v80, v3
	v_fma_f16 v25, v25, -0.5, v48
	v_fma_f16 v82, v51, 0.5, v2
	v_sub_f16_e32 v32, v32, v80
	v_sub_f16_e32 v3, v4, v52
	;; [unrolled: 1-line block ×3, first 2 shown]
	v_fma_f16 v80, v32, s1, v25
	v_fma_f16 v83, v32, s0, v25
	v_add_f16_e32 v27, v48, v27
	v_add_f16_e32 v32, v33, v82
	;; [unrolled: 1-line block ×3, first 2 shown]
	v_mul_i32_i24_e32 v4, 5, v24
	v_sub_f16_e32 v0, v53, v55
	v_mul_f16_e32 v25, 0x3aee, v51
	v_add_f16_e32 v85, v27, v30
	v_add_f16_e32 v27, v28, v49
	;; [unrolled: 1-line block ×3, first 2 shown]
	v_lshl_add_u64 v[52:53], v[4:5], 2, s[4:5]
	v_fma_f16 v84, v50, 0.5, v25
	global_load_dwordx4 v[48:51], v[52:53], off offset:280
	v_mul_f16_e32 v1, -0.5, v1
	global_load_dword v52, v[52:53], off offset:296
	v_fma_f16 v54, v54, s0, v1
	v_sub_f16_e32 v1, v80, v54
	v_add_f16_e32 v30, v80, v54
	ds_read_u16 v54, v26 offset:384
	s_waitcnt vmcnt(3)
	v_lshrrev_b32_e32 v4, 16, v59
	s_waitcnt lgkmcnt(1)
	v_mul_f16_sdwa v55, v81, v57 dst_sel:DWORD dst_unused:UNUSED_PAD src0_sel:DWORD src1_sel:WORD_1
	v_fma_f16 v55, v46, v57, -v55
	v_mul_f16_e32 v80, v4, v70
	v_mul_f16_sdwa v46, v46, v57 dst_sel:DWORD dst_unused:UNUSED_PAD src0_sel:DWORD src1_sel:WORD_1
	v_fma_f16 v80, v47, v59, -v80
	v_fma_f16 v46, v57, v81, v46
	v_mul_f16_e32 v57, v59, v70
	v_mul_f16_sdwa v59, v75, v58 dst_sel:DWORD dst_unused:UNUSED_PAD src0_sel:DWORD src1_sel:WORD_1
	v_fma_f16 v59, v44, v58, -v59
	s_waitcnt vmcnt(2)
	v_lshrrev_b32_e32 v70, 16, v79
	v_mul_f16_sdwa v44, v44, v58 dst_sel:DWORD dst_unused:UNUSED_PAD src0_sel:DWORD src1_sel:WORD_1
	v_sub_f16_e32 v25, v83, v84
	v_add_f16_e32 v24, v83, v84
	v_mul_f16_sdwa v53, v65, v56 dst_sel:DWORD dst_unused:UNUSED_PAD src0_sel:DWORD src1_sel:WORD_1
	v_mul_f16_e32 v83, v70, v63
	v_fma_f16 v44, v58, v75, v44
	v_mul_f16_e32 v58, v79, v63
	v_fma_f16 v53, v43, v56, -v53
	v_fma_f16 v83, v45, v79, -v83
	v_fma_f16 v45, v45, v70, v58
	v_mul_f16_sdwa v43, v43, v56 dst_sel:DWORD dst_unused:UNUSED_PAD src0_sel:DWORD src1_sel:WORD_1
	v_fma_f16 v4, v47, v4, v57
	v_add_f16_e32 v84, v59, v83
	v_fma_f16 v43, v56, v65, v43
	v_add_f16_e32 v56, v44, v45
	v_add_f16_e32 v47, v46, v4
	v_fma_f16 v84, v84, -0.5, v53
	v_sub_f16_e32 v58, v44, v45
	v_fma_f16 v56, v56, -0.5, v43
	v_add_f16_e32 v43, v43, v44
	v_fma_f16 v47, v47, -0.5, v60
	v_fma_f16 v63, v58, s1, v84
	v_sub_f16_e32 v70, v59, v83
	v_fma_f16 v58, v58, s0, v84
	v_add_f16_e32 v60, v46, v60
	v_add_f16_e32 v84, v43, v45
	;; [unrolled: 1-line block ×3, first 2 shown]
	v_fma_f16 v65, v70, s0, v56
	v_fma_f16 v56, v70, s1, v56
	v_add_f16_e32 v60, v4, v60
	v_fma_f16 v43, v43, -0.5, v42
	v_sub_f16_e32 v4, v46, v4
	v_mul_f16_e32 v70, 0xbaee, v58
	v_fma_f16 v46, v4, s1, v43
	v_fma_f16 v86, v4, s0, v43
	v_mul_f16_e32 v4, 0x3aee, v56
	v_fma_f16 v70, v56, 0.5, v70
	v_fma_f16 v56, v58, 0.5, v4
	v_add_f16_e32 v4, v42, v55
	v_sub_f16_e32 v82, v55, v80
	ds_read_u16 v81, v26 offset:864
	v_add_f16_e32 v55, v4, v80
	v_add_f16_e32 v4, v53, v59
	;; [unrolled: 1-line block ×3, first 2 shown]
	v_mul_i32_i24_e32 v4, 5, v23
	v_mul_f16_e32 v75, -0.5, v65
	v_mul_f16_e32 v44, -0.5, v63
	v_lshl_add_u64 v[4:5], v[4:5], 2, s[4:5]
	v_add_f16_e32 v35, v27, v35
	v_fma_f16 v57, v82, s0, v47
	v_fma_f16 v75, v63, s1, v75
	v_fma_f16 v63, v65, s0, v44
	v_sub_f16_e32 v59, v55, v53
	global_load_dwordx4 v[42:45], v[4:5], off offset:280
	v_add_f16_e32 v53, v55, v53
	v_sub_f16_e32 v27, v85, v35
	v_add_f16_e32 v35, v85, v35
	v_sub_f16_e32 v79, v57, v75
	v_fma_f16 v47, v82, s1, v47
	v_sub_f16_e32 v85, v60, v84
	v_add_f16_e32 v23, v57, v75
	v_add_f16_e32 v57, v60, v84
	s_waitcnt vmcnt(2) lgkmcnt(1)
	v_mul_f16_sdwa v55, v54, v49 dst_sel:DWORD dst_unused:UNUSED_PAD src0_sel:DWORD src1_sel:WORD_1
	v_fma_f16 v55, v40, v49, -v55
	v_mul_f16_sdwa v60, v71, v51 dst_sel:DWORD dst_unused:UNUSED_PAD src0_sel:DWORD src1_sel:WORD_1
	v_mul_f16_sdwa v40, v40, v49 dst_sel:DWORD dst_unused:UNUSED_PAD src0_sel:DWORD src1_sel:WORD_1
	v_sub_f16_e32 v82, v47, v70
	v_add_f16_e32 v47, v47, v70
	v_fma_f16 v60, v41, v51, -v60
	v_fma_f16 v40, v49, v54, v40
	v_mul_f16_sdwa v41, v41, v51 dst_sel:DWORD dst_unused:UNUSED_PAD src0_sel:DWORD src1_sel:WORD_1
	global_load_dword v4, v[4:5], off offset:296
	v_mul_f16_sdwa v54, v76, v50 dst_sel:DWORD dst_unused:UNUSED_PAD src0_sel:DWORD src1_sel:WORD_1
	s_waitcnt vmcnt(2) lgkmcnt(0)
	v_mul_f16_sdwa v70, v81, v52 dst_sel:DWORD dst_unused:UNUSED_PAD src0_sel:DWORD src1_sel:WORD_1
	v_fma_f16 v41, v51, v71, v41
	v_mul_f16_sdwa v51, v66, v48 dst_sel:DWORD dst_unused:UNUSED_PAD src0_sel:DWORD src1_sel:WORD_1
	v_fma_f16 v54, v38, v50, -v54
	v_fma_f16 v70, v39, v52, -v70
	v_mul_f16_sdwa v38, v38, v50 dst_sel:DWORD dst_unused:UNUSED_PAD src0_sel:DWORD src1_sel:WORD_1
	v_mul_f16_sdwa v39, v39, v52 dst_sel:DWORD dst_unused:UNUSED_PAD src0_sel:DWORD src1_sel:WORD_1
	v_fma_f16 v51, v37, v48, -v51
	v_fma_f16 v38, v50, v76, v38
	v_fma_f16 v39, v52, v81, v39
	v_mul_f16_sdwa v37, v37, v48 dst_sel:DWORD dst_unused:UNUSED_PAD src0_sel:DWORD src1_sel:WORD_1
	v_add_f16_e32 v71, v54, v70
	v_fma_f16 v37, v48, v66, v37
	v_add_f16_e32 v48, v38, v39
	v_add_f16_e32 v5, v40, v41
	v_fma_f16 v71, v71, -0.5, v51
	v_sub_f16_e32 v50, v38, v39
	v_sub_f16_e32 v75, v54, v70
	v_fma_f16 v48, v48, -0.5, v37
	v_add_f16_e32 v37, v37, v38
	v_sub_f16_e32 v65, v46, v63
	v_add_f16_e32 v46, v46, v63
	v_sub_f16_e32 v63, v55, v60
	v_fma_f16 v5, v5, -0.5, v61
	v_fma_f16 v52, v50, s1, v71
	v_fma_f16 v66, v75, s0, v48
	;; [unrolled: 1-line block ×4, first 2 shown]
	v_add_f16_e32 v75, v37, v39
	v_add_f16_e32 v37, v55, v60
	v_fma_f16 v49, v63, s0, v5
	v_fma_f16 v5, v63, s1, v5
	v_mul_f16_e32 v63, 0xbaee, v50
	v_add_f16_e32 v61, v40, v61
	v_fma_f16 v37, v37, -0.5, v36
	v_sub_f16_e32 v38, v40, v41
	v_mul_f16_e32 v39, -0.5, v52
	v_add_f16_e32 v55, v36, v55
	v_mul_u32_u24_e32 v36, 5, v18
	v_mul_f16_e32 v76, -0.5, v66
	v_fma_f16 v63, v48, 0.5, v63
	v_add_f16_e32 v61, v41, v61
	v_fma_f16 v40, v38, s1, v37
	v_fma_f16 v41, v66, s0, v39
	;; [unrolled: 1-line block ×3, first 2 shown]
	v_mul_f16_e32 v37, 0x3aee, v48
	v_lshlrev_b32_e32 v83, 2, v36
	v_sub_f16_e32 v71, v5, v63
	v_fma_f16 v48, v50, 0.5, v37
	global_load_dwordx4 v[36:39], v83, s[4:5] offset:280
	v_add_f16_e32 v55, v55, v60
	v_add_f16_e32 v60, v5, v63
	global_load_dword v63, v83, s[4:5] offset:296
	ds_read_u16 v26, v26 offset:352
	v_add_f16_e32 v51, v51, v54
	v_add_f16_e32 v51, v51, v70
	v_fma_f16 v76, v52, s1, v76
	v_sub_f16_e32 v52, v40, v41
	v_sub_f16_e32 v50, v66, v48
	;; [unrolled: 1-line block ×3, first 2 shown]
	s_waitcnt vmcnt(3) lgkmcnt(0)
	v_mul_f16_sdwa v5, v26, v43 dst_sel:DWORD dst_unused:UNUSED_PAD src0_sel:DWORD src1_sel:WORD_1
	v_fma_f16 v5, v31, v43, -v5
	v_mul_f16_sdwa v31, v31, v43 dst_sel:DWORD dst_unused:UNUSED_PAD src0_sel:DWORD src1_sel:WORD_1
	v_add_f16_e32 v40, v40, v41
	v_add_f16_e32 v41, v66, v48
	;; [unrolled: 1-line block ×3, first 2 shown]
	v_mul_f16_sdwa v51, v72, v45 dst_sel:DWORD dst_unused:UNUSED_PAD src0_sel:DWORD src1_sel:WORD_1
	v_fma_f16 v26, v43, v26, v31
	v_mul_f16_sdwa v31, v34, v45 dst_sel:DWORD dst_unused:UNUSED_PAD src0_sel:DWORD src1_sel:WORD_1
	v_mul_f16_sdwa v66, v77, v44 dst_sel:DWORD dst_unused:UNUSED_PAD src0_sel:DWORD src1_sel:WORD_1
	v_fma_f16 v51, v34, v45, -v51
	v_fma_f16 v31, v45, v72, v31
	v_mul_f16_sdwa v45, v67, v42 dst_sel:DWORD dst_unused:UNUSED_PAD src0_sel:DWORD src1_sel:WORD_1
	v_fma_f16 v66, v15, v44, -v66
	v_mul_f16_sdwa v15, v15, v44 dst_sel:DWORD dst_unused:UNUSED_PAD src0_sel:DWORD src1_sel:WORD_1
	v_fma_f16 v45, v14, v42, -v45
	v_fma_f16 v15, v44, v77, v15
	v_mul_f16_sdwa v14, v14, v42 dst_sel:DWORD dst_unused:UNUSED_PAD src0_sel:DWORD src1_sel:WORD_1
	s_waitcnt vmcnt(2)
	v_mul_f16_sdwa v70, v68, v4 dst_sel:DWORD dst_unused:UNUSED_PAD src0_sel:DWORD src1_sel:WORD_1
	v_fma_f16 v70, v12, v4, -v70
	v_mul_f16_sdwa v12, v12, v4 dst_sel:DWORD dst_unused:UNUSED_PAD src0_sel:DWORD src1_sel:WORD_1
	v_fma_f16 v4, v4, v68, v12
	v_add_f16_e32 v72, v66, v70
	v_fma_f16 v14, v42, v67, v14
	v_add_f16_e32 v42, v15, v4
	v_add_f16_e32 v34, v26, v31
	v_fma_f16 v72, v72, -0.5, v45
	v_sub_f16_e32 v12, v15, v4
	v_sub_f16_e32 v68, v66, v70
	v_fma_f16 v42, v42, -0.5, v14
	v_sub_f16_e32 v55, v5, v51
	v_fma_f16 v34, v34, -0.5, v62
	v_fma_f16 v44, v12, s1, v72
	v_fma_f16 v67, v68, s0, v42
	;; [unrolled: 1-line block ×3, first 2 shown]
	v_sub_f16_e32 v81, v61, v75
	v_add_f16_e32 v61, v61, v75
	v_fma_f16 v43, v55, s0, v34
	v_mul_f16_e32 v75, -0.5, v67
	v_fma_f16 v34, v55, s1, v34
	v_fma_f16 v42, v68, s1, v42
	v_mul_f16_e32 v55, 0xbaee, v12
	v_add_f16_e32 v14, v14, v15
	v_add_f16_e32 v15, v5, v51
	v_fma_f16 v75, v44, s1, v75
	v_fma_f16 v55, v42, 0.5, v55
	v_add_f16_e32 v62, v26, v62
	v_fma_f16 v15, v15, -0.5, v13
	v_sub_f16_e32 v26, v26, v31
	v_mul_f16_e32 v44, -0.5, v44
	v_add_f16_e32 v5, v13, v5
	v_sub_f16_e32 v68, v34, v55
	v_add_f16_e32 v62, v31, v62
	v_fma_f16 v31, v26, s1, v15
	v_fma_f16 v44, v67, s0, v44
	v_add_f16_e32 v5, v5, v51
	v_add_f16_e32 v13, v45, v66
	;; [unrolled: 1-line block ×4, first 2 shown]
	v_sub_f16_e32 v67, v31, v44
	v_add_f16_e32 v13, v13, v70
	v_add_f16_e32 v31, v31, v44
	v_sub_f16_e32 v14, v62, v4
	v_fma_f16 v15, v26, s0, v15
	v_mul_f16_e32 v26, 0x3aee, v42
	v_sub_f16_e32 v42, v5, v13
	v_add_f16_e32 v45, v62, v4
	v_add_f16_e32 v13, v5, v13
	v_fma_f16 v12, v12, 0.5, v26
	s_waitcnt vmcnt(1)
	v_mul_f16_sdwa v51, v78, v38 dst_sel:DWORD dst_unused:UNUSED_PAD src0_sel:DWORD src1_sel:WORD_1
	v_mul_f16_sdwa v44, v29, v36 dst_sel:DWORD dst_unused:UNUSED_PAD src0_sel:DWORD src1_sel:WORD_1
	v_fma_f16 v51, v8, v38, -v51
	s_waitcnt vmcnt(0)
	v_mul_f16_sdwa v55, v69, v63 dst_sel:DWORD dst_unused:UNUSED_PAD src0_sel:DWORD src1_sel:WORD_1
	v_fma_f16 v55, v9, v63, -v55
	v_mul_f16_sdwa v8, v8, v38 dst_sel:DWORD dst_unused:UNUSED_PAD src0_sel:DWORD src1_sel:WORD_1
	v_mul_f16_sdwa v9, v9, v63 dst_sel:DWORD dst_unused:UNUSED_PAD src0_sel:DWORD src1_sel:WORD_1
	;; [unrolled: 1-line block ×4, first 2 shown]
	v_fma_f16 v44, v7, v36, -v44
	v_fma_f16 v8, v38, v78, v8
	v_fma_f16 v9, v63, v69, v9
	v_mul_f16_sdwa v7, v7, v36 dst_sel:DWORD dst_unused:UNUSED_PAD src0_sel:DWORD src1_sel:WORD_1
	v_fma_f16 v4, v10, v37, -v4
	v_fma_f16 v5, v11, v39, -v5
	v_mul_f16_sdwa v10, v10, v37 dst_sel:DWORD dst_unused:UNUSED_PAD src0_sel:DWORD src1_sel:WORD_1
	v_mul_f16_sdwa v11, v11, v39 dst_sel:DWORD dst_unused:UNUSED_PAD src0_sel:DWORD src1_sel:WORD_1
	v_fma_f16 v7, v36, v29, v7
	v_add_f16_e32 v29, v8, v9
	v_fma_f16 v10, v37, v64, v10
	v_fma_f16 v11, v39, v73, v11
	v_fma_f16 v29, v29, -0.5, v7
	v_add_f16_e32 v7, v7, v8
	v_add_f16_e32 v37, v10, v11
	;; [unrolled: 1-line block ×3, first 2 shown]
	v_sub_f16_e32 v38, v8, v9
	v_sub_f16_e32 v64, v51, v55
	v_add_f16_e32 v7, v7, v9
	v_add_f16_e32 v9, v4, v5
	v_sub_f16_e32 v26, v15, v12
	v_add_f16_e32 v12, v15, v12
	v_sub_f16_e32 v15, v4, v5
	v_fma_f16 v37, v37, -0.5, v74
	v_fma_f16 v62, v62, -0.5, v44
	v_fma_f16 v36, v64, s0, v29
	v_fma_f16 v29, v64, s1, v29
	v_add_f16_e32 v64, v10, v74
	v_fma_f16 v9, v9, -0.5, v6
	v_sub_f16_e32 v10, v10, v11
	v_add_f16_e32 v4, v6, v4
	v_fma_f16 v39, v15, s0, v37
	v_fma_f16 v63, v38, s1, v62
	v_mul_f16_e32 v66, -0.5, v36
	v_fma_f16 v15, v15, s1, v37
	v_fma_f16 v37, v38, s0, v62
	v_add_f16_e32 v64, v11, v64
	v_fma_f16 v11, v10, s1, v9
	v_fma_f16 v9, v10, s0, v9
	v_mul_f16_e32 v10, 0x3aee, v29
	v_add_f16_e32 v4, v4, v5
	v_add_f16_e32 v5, v44, v51
	v_fma_f16 v66, v63, s1, v66
	v_mul_f16_e32 v38, 0xbaee, v37
	v_mul_f16_e32 v63, -0.5, v63
	v_fma_f16 v10, v37, 0.5, v10
	v_add_f16_e32 v5, v5, v55
	v_fma_f16 v38, v29, 0.5, v38
	v_fma_f16 v36, v36, s0, v63
	v_sub_f16_e32 v29, v9, v10
	v_sub_f16_e32 v37, v4, v5
	v_add_f16_e32 v9, v9, v10
	v_add_f16_e32 v10, v4, v5
	v_mad_u64_u32 v[4:5], s[0:1], s8, v18, 0
	v_mov_b32_e32 v6, v5
	v_sub_f16_e32 v62, v15, v38
	v_sub_f16_e32 v8, v64, v7
	v_add_f16_e32 v15, v15, v38
	v_add_f16_e32 v38, v64, v7
	v_mad_u64_u32 v[6:7], s[0:1], s9, v18, v[6:7]
	v_mov_b32_e32 v5, v6
	v_lshl_add_u64 v[4:5], v[4:5], 2, v[16:17]
	v_pack_b32_f16 v6, v10, v38
	v_or_b32_e32 v7, 0x50, v18
	global_store_dword v[4:5], v6, off
	v_mad_u64_u32 v[4:5], s[0:1], s8, v7, 0
	v_mov_b32_e32 v6, v5
	v_mad_u64_u32 v[6:7], s[0:1], s9, v7, v[6:7]
	v_mov_b32_e32 v5, v6
	v_lshl_add_u64 v[4:5], v[4:5], 2, v[16:17]
	v_pack_b32_f16 v6, v9, v15
	v_or_b32_e32 v7, 0xa0, v18
	global_store_dword v[4:5], v6, off
	v_mad_u64_u32 v[4:5], s[0:1], s8, v7, 0
	v_mov_b32_e32 v6, v5
	v_mad_u64_u32 v[6:7], s[0:1], s9, v7, v[6:7]
	v_sub_f16_e32 v69, v39, v66
	v_sub_f16_e32 v63, v11, v36
	v_add_f16_e32 v39, v39, v66
	v_add_f16_e32 v11, v11, v36
	v_mov_b32_e32 v5, v6
	v_lshl_add_u64 v[4:5], v[4:5], 2, v[16:17]
	v_pack_b32_f16 v6, v11, v39
	v_or_b32_e32 v7, 0xf0, v18
	global_store_dword v[4:5], v6, off
	v_mad_u64_u32 v[4:5], s[0:1], s8, v7, 0
	v_mov_b32_e32 v6, v5
	v_mad_u64_u32 v[6:7], s[0:1], s9, v7, v[6:7]
	v_mov_b32_e32 v5, v6
	v_lshl_add_u64 v[4:5], v[4:5], 2, v[16:17]
	v_pack_b32_f16 v6, v37, v8
	v_or_b32_e32 v7, 0x140, v18
	global_store_dword v[4:5], v6, off
	v_mad_u64_u32 v[4:5], s[0:1], s8, v7, 0
	v_mov_b32_e32 v6, v5
	v_mad_u64_u32 v[6:7], s[0:1], s9, v7, v[6:7]
	;; [unrolled: 8-line block ×3, first 2 shown]
	v_mov_b32_e32 v5, v6
	v_lshl_add_u64 v[4:5], v[4:5], 2, v[16:17]
	v_pack_b32_f16 v6, v63, v69
	global_store_dword v[4:5], v6, off
	v_mad_u64_u32 v[4:5], s[0:1], s8, v22, 0
	v_mov_b32_e32 v6, v5
	v_mad_u64_u32 v[6:7], s[0:1], s9, v22, v[6:7]
	v_mov_b32_e32 v5, v6
	v_lshl_add_u64 v[4:5], v[4:5], 2, v[16:17]
	v_pack_b32_f16 v6, v13, v45
	v_or_b32_e32 v7, 0x60, v18
	global_store_dword v[4:5], v6, off
	v_mad_u64_u32 v[4:5], s[0:1], s8, v7, 0
	v_mov_b32_e32 v6, v5
	v_mad_u64_u32 v[6:7], s[0:1], s9, v7, v[6:7]
	v_mov_b32_e32 v5, v6
	v_lshl_add_u64 v[4:5], v[4:5], 2, v[16:17]
	v_pack_b32_f16 v6, v12, v34
	v_or_b32_e32 v7, 0xb0, v18
	global_store_dword v[4:5], v6, off
	v_mad_u64_u32 v[4:5], s[0:1], s8, v7, 0
	v_mov_b32_e32 v6, v5
	v_mad_u64_u32 v[6:7], s[0:1], s9, v7, v[6:7]
	v_sub_f16_e32 v80, v49, v76
	v_add_f16_e32 v49, v49, v76
	v_sub_f16_e32 v76, v43, v75
	v_add_f16_e32 v43, v43, v75
	v_mov_b32_e32 v5, v6
	v_lshl_add_u64 v[4:5], v[4:5], 2, v[16:17]
	v_pack_b32_f16 v6, v31, v43
	v_or_b32_e32 v7, 0x100, v18
	global_store_dword v[4:5], v6, off
	v_mad_u64_u32 v[4:5], s[0:1], s8, v7, 0
	v_mov_b32_e32 v6, v5
	v_mad_u64_u32 v[6:7], s[0:1], s9, v7, v[6:7]
	v_mov_b32_e32 v5, v6
	v_lshl_add_u64 v[4:5], v[4:5], 2, v[16:17]
	v_pack_b32_f16 v6, v42, v14
	v_or_b32_e32 v7, 0x150, v18
	global_store_dword v[4:5], v6, off
	v_mad_u64_u32 v[4:5], s[0:1], s8, v7, 0
	v_mov_b32_e32 v6, v5
	v_mad_u64_u32 v[6:7], s[0:1], s9, v7, v[6:7]
	;; [unrolled: 8-line block ×3, first 2 shown]
	v_mov_b32_e32 v5, v6
	v_lshl_add_u64 v[4:5], v[4:5], 2, v[16:17]
	v_pack_b32_f16 v6, v67, v76
	global_store_dword v[4:5], v6, off
	v_mad_u64_u32 v[4:5], s[0:1], s8, v21, 0
	v_mov_b32_e32 v6, v5
	v_mad_u64_u32 v[6:7], s[0:1], s9, v21, v[6:7]
	v_mov_b32_e32 v5, v6
	v_lshl_add_u64 v[4:5], v[4:5], 2, v[16:17]
	v_pack_b32_f16 v6, v48, v61
	v_or_b32_e32 v7, 0x70, v18
	global_store_dword v[4:5], v6, off
	v_mad_u64_u32 v[4:5], s[0:1], s8, v7, 0
	v_mov_b32_e32 v6, v5
	v_mad_u64_u32 v[6:7], s[0:1], s9, v7, v[6:7]
	v_mov_b32_e32 v5, v6
	v_lshl_add_u64 v[4:5], v[4:5], 2, v[16:17]
	v_pack_b32_f16 v6, v41, v60
	v_or_b32_e32 v7, 0xc0, v18
	;; [unrolled: 8-line block ×5, first 2 shown]
	global_store_dword v[4:5], v6, off
	v_mad_u64_u32 v[4:5], s[0:1], s8, v7, 0
	v_mov_b32_e32 v6, v5
	v_mad_u64_u32 v[6:7], s[0:1], s9, v7, v[6:7]
	v_mov_b32_e32 v5, v6
	v_lshl_add_u64 v[4:5], v[4:5], 2, v[16:17]
	v_pack_b32_f16 v6, v52, v80
	global_store_dword v[4:5], v6, off
	v_mad_u64_u32 v[4:5], s[0:1], s8, v19, 0
	v_mov_b32_e32 v6, v5
	v_mad_u64_u32 v[6:7], s[0:1], s9, v19, v[6:7]
	v_mov_b32_e32 v5, v6
	v_lshl_add_u64 v[4:5], v[4:5], 2, v[16:17]
	v_pack_b32_f16 v6, v53, v57
	v_or_b32_e32 v7, 0x80, v18
	global_store_dword v[4:5], v6, off
	v_mad_u64_u32 v[4:5], s[0:1], s8, v7, 0
	v_mov_b32_e32 v6, v5
	v_mad_u64_u32 v[6:7], s[0:1], s9, v7, v[6:7]
	v_sub_f16_e32 v58, v86, v56
	v_add_f16_e32 v56, v86, v56
	v_mov_b32_e32 v5, v6
	v_lshl_add_u64 v[4:5], v[4:5], 2, v[16:17]
	v_pack_b32_f16 v6, v56, v47
	v_or_b32_e32 v7, 0xd0, v18
	global_store_dword v[4:5], v6, off
	v_mad_u64_u32 v[4:5], s[0:1], s8, v7, 0
	v_mov_b32_e32 v6, v5
	v_mad_u64_u32 v[6:7], s[0:1], s9, v7, v[6:7]
	v_mov_b32_e32 v5, v6
	v_lshl_add_u64 v[4:5], v[4:5], 2, v[16:17]
	v_pack_b32_f16 v6, v46, v23
	v_or_b32_e32 v7, 0x120, v18
	global_store_dword v[4:5], v6, off
	v_mad_u64_u32 v[4:5], s[0:1], s8, v7, 0
	v_mov_b32_e32 v6, v5
	v_mad_u64_u32 v[6:7], s[0:1], s9, v7, v[6:7]
	;; [unrolled: 8-line block ×4, first 2 shown]
	v_mov_b32_e32 v5, v6
	v_lshl_add_u64 v[4:5], v[4:5], 2, v[16:17]
	v_pack_b32_f16 v6, v65, v79
	global_store_dword v[4:5], v6, off
	v_mad_u64_u32 v[4:5], s[0:1], s8, v20, 0
	v_mov_b32_e32 v6, v5
	v_mad_u64_u32 v[6:7], s[0:1], s9, v20, v[6:7]
	v_mov_b32_e32 v5, v6
	v_lshl_add_u64 v[4:5], v[4:5], 2, v[16:17]
	v_pack_b32_f16 v6, v35, v33
	v_or_b32_e32 v7, 0x90, v18
	global_store_dword v[4:5], v6, off
	v_mad_u64_u32 v[4:5], s[0:1], s8, v7, 0
	v_mov_b32_e32 v6, v5
	v_mad_u64_u32 v[6:7], s[0:1], s9, v7, v[6:7]
	v_mov_b32_e32 v5, v6
	v_lshl_add_u64 v[4:5], v[4:5], 2, v[16:17]
	v_pack_b32_f16 v6, v24, v32
	v_or_b32_e32 v7, 0xe0, v18
	;; [unrolled: 8-line block ×3, first 2 shown]
	global_store_dword v[4:5], v6, off
	v_mad_u64_u32 v[4:5], s[0:1], s8, v7, 0
	v_mov_b32_e32 v6, v5
	v_mad_u64_u32 v[6:7], s[0:1], s9, v7, v[6:7]
	v_mov_b32_e32 v5, v6
	v_lshl_add_u64 v[4:5], v[4:5], 2, v[16:17]
	v_pack_b32_f16 v3, v27, v3
	global_store_dword v[4:5], v3, off
	v_or_b32_e32 v3, 0x180, v18
	v_mad_u64_u32 v[4:5], s[0:1], s8, v3, 0
	v_mov_b32_e32 v6, v5
	v_mad_u64_u32 v[6:7], s[0:1], s9, v3, v[6:7]
	v_mov_b32_e32 v5, v6
	v_lshl_add_u64 v[4:5], v[4:5], 2, v[16:17]
	v_pack_b32_f16 v2, v25, v2
	global_store_dword v[4:5], v2, off
	v_or_b32_e32 v5, 0x1d0, v18
	v_mad_u64_u32 v[2:3], s[0:1], s8, v5, 0
	v_mov_b32_e32 v4, v3
	v_mad_u64_u32 v[4:5], s[0:1], s9, v5, v[4:5]
	v_mov_b32_e32 v3, v4
	v_lshl_add_u64 v[2:3], v[2:3], 2, v[16:17]
	v_pack_b32_f16 v0, v1, v0
	global_store_dword v[2:3], v0, off
.LBB0_23:
	s_endpgm
	.section	.rodata,"a",@progbits
	.p2align	6, 0x0
	.amdhsa_kernel fft_rtc_fwd_len480_factors_10_8_6_wgs_64_tpt_16_halfLds_half_ip_CI_sbrr_dirReg
		.amdhsa_group_segment_fixed_size 0
		.amdhsa_private_segment_fixed_size 0
		.amdhsa_kernarg_size 88
		.amdhsa_user_sgpr_count 2
		.amdhsa_user_sgpr_dispatch_ptr 0
		.amdhsa_user_sgpr_queue_ptr 0
		.amdhsa_user_sgpr_kernarg_segment_ptr 1
		.amdhsa_user_sgpr_dispatch_id 0
		.amdhsa_user_sgpr_kernarg_preload_length 0
		.amdhsa_user_sgpr_kernarg_preload_offset 0
		.amdhsa_user_sgpr_private_segment_size 0
		.amdhsa_uses_dynamic_stack 0
		.amdhsa_enable_private_segment 0
		.amdhsa_system_sgpr_workgroup_id_x 1
		.amdhsa_system_sgpr_workgroup_id_y 0
		.amdhsa_system_sgpr_workgroup_id_z 0
		.amdhsa_system_sgpr_workgroup_info 0
		.amdhsa_system_vgpr_workitem_id 0
		.amdhsa_next_free_vgpr 127
		.amdhsa_next_free_sgpr 24
		.amdhsa_accum_offset 128
		.amdhsa_reserve_vcc 1
		.amdhsa_float_round_mode_32 0
		.amdhsa_float_round_mode_16_64 0
		.amdhsa_float_denorm_mode_32 3
		.amdhsa_float_denorm_mode_16_64 3
		.amdhsa_dx10_clamp 1
		.amdhsa_ieee_mode 1
		.amdhsa_fp16_overflow 0
		.amdhsa_tg_split 0
		.amdhsa_exception_fp_ieee_invalid_op 0
		.amdhsa_exception_fp_denorm_src 0
		.amdhsa_exception_fp_ieee_div_zero 0
		.amdhsa_exception_fp_ieee_overflow 0
		.amdhsa_exception_fp_ieee_underflow 0
		.amdhsa_exception_fp_ieee_inexact 0
		.amdhsa_exception_int_div_zero 0
	.end_amdhsa_kernel
	.text
.Lfunc_end0:
	.size	fft_rtc_fwd_len480_factors_10_8_6_wgs_64_tpt_16_halfLds_half_ip_CI_sbrr_dirReg, .Lfunc_end0-fft_rtc_fwd_len480_factors_10_8_6_wgs_64_tpt_16_halfLds_half_ip_CI_sbrr_dirReg
                                        ; -- End function
	.section	.AMDGPU.csdata,"",@progbits
; Kernel info:
; codeLenInByte = 14360
; NumSgprs: 30
; NumVgprs: 127
; NumAgprs: 0
; TotalNumVgprs: 127
; ScratchSize: 0
; MemoryBound: 0
; FloatMode: 240
; IeeeMode: 1
; LDSByteSize: 0 bytes/workgroup (compile time only)
; SGPRBlocks: 3
; VGPRBlocks: 15
; NumSGPRsForWavesPerEU: 30
; NumVGPRsForWavesPerEU: 127
; AccumOffset: 128
; Occupancy: 4
; WaveLimiterHint : 1
; COMPUTE_PGM_RSRC2:SCRATCH_EN: 0
; COMPUTE_PGM_RSRC2:USER_SGPR: 2
; COMPUTE_PGM_RSRC2:TRAP_HANDLER: 0
; COMPUTE_PGM_RSRC2:TGID_X_EN: 1
; COMPUTE_PGM_RSRC2:TGID_Y_EN: 0
; COMPUTE_PGM_RSRC2:TGID_Z_EN: 0
; COMPUTE_PGM_RSRC2:TIDIG_COMP_CNT: 0
; COMPUTE_PGM_RSRC3_GFX90A:ACCUM_OFFSET: 31
; COMPUTE_PGM_RSRC3_GFX90A:TG_SPLIT: 0
	.text
	.p2alignl 6, 3212836864
	.fill 256, 4, 3212836864
	.type	__hip_cuid_6342613fea0a7169,@object ; @__hip_cuid_6342613fea0a7169
	.section	.bss,"aw",@nobits
	.globl	__hip_cuid_6342613fea0a7169
__hip_cuid_6342613fea0a7169:
	.byte	0                               ; 0x0
	.size	__hip_cuid_6342613fea0a7169, 1

	.ident	"AMD clang version 19.0.0git (https://github.com/RadeonOpenCompute/llvm-project roc-6.4.0 25133 c7fe45cf4b819c5991fe208aaa96edf142730f1d)"
	.section	".note.GNU-stack","",@progbits
	.addrsig
	.addrsig_sym __hip_cuid_6342613fea0a7169
	.amdgpu_metadata
---
amdhsa.kernels:
  - .agpr_count:     0
    .args:
      - .actual_access:  read_only
        .address_space:  global
        .offset:         0
        .size:           8
        .value_kind:     global_buffer
      - .offset:         8
        .size:           8
        .value_kind:     by_value
      - .actual_access:  read_only
        .address_space:  global
        .offset:         16
        .size:           8
        .value_kind:     global_buffer
      - .actual_access:  read_only
        .address_space:  global
        .offset:         24
        .size:           8
        .value_kind:     global_buffer
      - .offset:         32
        .size:           8
        .value_kind:     by_value
      - .actual_access:  read_only
        .address_space:  global
        .offset:         40
        .size:           8
        .value_kind:     global_buffer
      - .actual_access:  read_only
        .address_space:  global
        .offset:         48
        .size:           8
        .value_kind:     global_buffer
      - .offset:         56
        .size:           4
        .value_kind:     by_value
      - .actual_access:  read_only
        .address_space:  global
        .offset:         64
        .size:           8
        .value_kind:     global_buffer
      - .actual_access:  read_only
        .address_space:  global
        .offset:         72
        .size:           8
        .value_kind:     global_buffer
      - .address_space:  global
        .offset:         80
        .size:           8
        .value_kind:     global_buffer
    .group_segment_fixed_size: 0
    .kernarg_segment_align: 8
    .kernarg_segment_size: 88
    .language:       OpenCL C
    .language_version:
      - 2
      - 0
    .max_flat_workgroup_size: 64
    .name:           fft_rtc_fwd_len480_factors_10_8_6_wgs_64_tpt_16_halfLds_half_ip_CI_sbrr_dirReg
    .private_segment_fixed_size: 0
    .sgpr_count:     30
    .sgpr_spill_count: 0
    .symbol:         fft_rtc_fwd_len480_factors_10_8_6_wgs_64_tpt_16_halfLds_half_ip_CI_sbrr_dirReg.kd
    .uniform_work_group_size: 1
    .uses_dynamic_stack: false
    .vgpr_count:     127
    .vgpr_spill_count: 0
    .wavefront_size: 64
amdhsa.target:   amdgcn-amd-amdhsa--gfx950
amdhsa.version:
  - 1
  - 2
...

	.end_amdgpu_metadata
